;; amdgpu-corpus repo=ROCm/Tensile kind=harvested arch=n/a opt=n/a

/******************************************/
/* Function Prefix                        */
/******************************************/



/******************************************/
/* Begin Kernel                           */
/******************************************/

// Component.Signature.SignatureDefault
.amdgcn_target "amdgcn-amd-amdhsa--gfx942"
.text
.protected Cijk_Ailk_Bljk_BBS_BH_MT256x256x64_MI16x16x16x1_SN_1LDSB1_APM1_AF0EM1_AF1EM1_AMAS3_ASE_ASGT_ASLT_ASM_ASAE01_ASCE01_ASEM1_BL1_BS1_CLR1_DTVA1_DTVB0_ETSP_EPS1_ELFLR0_EMLL0_FSSC10_FL0_GLVWA4_GLVWB2_GRCGA1_GRPM0p26_GRVWn1_GSU1_GSUASB_GLS0_IU1_K1_LBSPPA0_LBSPPB256_LPA0_LPB4_LRVW4_LWPMn1_MIAV0_MKFGSU256_NTA0_NTB0_NTC3_NTD3_NEPBS0_NLCA1_NLCB1_ONLL1_PGR1_PLR1_PKA0_SIA3_SLW1_SS1_SU0_SUM0_SUS0_SPO1_SRVW0_SSO0_SVW4_TSGRA0_TSGRB0_TT4_256_TLDS1_UMLDSA0_UMLDSB1_USFGROn1_VAW1_VSn1_VW4_VWB2_VFLRP1_WSGRA0_WSGRB0_WG64_4_1_WGM30
.globl Cijk_Ailk_Bljk_BBS_BH_MT256x256x64_MI16x16x16x1_SN_1LDSB1_APM1_AF0EM1_AF1EM1_AMAS3_ASE_ASGT_ASLT_ASM_ASAE01_ASCE01_ASEM1_BL1_BS1_CLR1_DTVA1_DTVB0_ETSP_EPS1_ELFLR0_EMLL0_FSSC10_FL0_GLVWA4_GLVWB2_GRCGA1_GRPM0p26_GRVWn1_GSU1_GSUASB_GLS0_IU1_K1_LBSPPA0_LBSPPB256_LPA0_LPB4_LRVW4_LWPMn1_MIAV0_MKFGSU256_NTA0_NTB0_NTC3_NTD3_NEPBS0_NLCA1_NLCB1_ONLL1_PGR1_PLR1_PKA0_SIA3_SLW1_SS1_SU0_SUM0_SUS0_SPO1_SRVW0_SSO0_SVW4_TSGRA0_TSGRB0_TT4_256_TLDS1_UMLDSA0_UMLDSB1_USFGROn1_VAW1_VSn1_VW4_VWB2_VFLRP1_WSGRA0_WSGRB0_WG64_4_1_WGM30
.p2align 8
.type Cijk_Ailk_Bljk_BBS_BH_MT256x256x64_MI16x16x16x1_SN_1LDSB1_APM1_AF0EM1_AF1EM1_AMAS3_ASE_ASGT_ASLT_ASM_ASAE01_ASCE01_ASEM1_BL1_BS1_CLR1_DTVA1_DTVB0_ETSP_EPS1_ELFLR0_EMLL0_FSSC10_FL0_GLVWA4_GLVWB2_GRCGA1_GRPM0p26_GRVWn1_GSU1_GSUASB_GLS0_IU1_K1_LBSPPA0_LBSPPB256_LPA0_LPB4_LRVW4_LWPMn1_MIAV0_MKFGSU256_NTA0_NTB0_NTC3_NTD3_NEPBS0_NLCA1_NLCB1_ONLL1_PGR1_PLR1_PKA0_SIA3_SLW1_SS1_SU0_SUM0_SUS0_SPO1_SRVW0_SSO0_SVW4_TSGRA0_TSGRB0_TT4_256_TLDS1_UMLDSA0_UMLDSB1_USFGROn1_VAW1_VSn1_VW4_VWB2_VFLRP1_WSGRA0_WSGRB0_WG64_4_1_WGM30,@function
.section .rodata,#alloc
.p2align 6
.amdhsa_kernel Cijk_Ailk_Bljk_BBS_BH_MT256x256x64_MI16x16x16x1_SN_1LDSB1_APM1_AF0EM1_AF1EM1_AMAS3_ASE_ASGT_ASLT_ASM_ASAE01_ASCE01_ASEM1_BL1_BS1_CLR1_DTVA1_DTVB0_ETSP_EPS1_ELFLR0_EMLL0_FSSC10_FL0_GLVWA4_GLVWB2_GRCGA1_GRPM0p26_GRVWn1_GSU1_GSUASB_GLS0_IU1_K1_LBSPPA0_LBSPPB256_LPA0_LPB4_LRVW4_LWPMn1_MIAV0_MKFGSU256_NTA0_NTB0_NTC3_NTD3_NEPBS0_NLCA1_NLCB1_ONLL1_PGR1_PLR1_PKA0_SIA3_SLW1_SS1_SU0_SUM0_SUS0_SPO1_SRVW0_SSO0_SVW4_TSGRA0_TSGRB0_TT4_256_TLDS1_UMLDSA0_UMLDSB1_USFGROn1_VAW1_VSn1_VW4_VWB2_VFLRP1_WSGRA0_WSGRB0_WG64_4_1_WGM30
  .amdhsa_user_sgpr_kernarg_segment_ptr 1
  .amdhsa_user_sgpr_kernarg_preload_offset 0
  .amdhsa_user_sgpr_kernarg_preload_length 0
  .amdhsa_user_sgpr_count 2
  .amdhsa_accum_offset 256 // accvgpr offset
  .amdhsa_next_free_vgpr 512 // vgprs
  .amdhsa_next_free_sgpr 62 // sgprs
  .amdhsa_group_segment_fixed_size 33792 // lds bytes
  .amdhsa_private_segment_fixed_size 0
  .amdhsa_system_sgpr_workgroup_id_x 1
  .amdhsa_system_sgpr_workgroup_id_y 1
  .amdhsa_system_sgpr_workgroup_id_z 1
  .amdhsa_system_vgpr_workitem_id 0
  .amdhsa_float_denorm_mode_32 3
  .amdhsa_float_denorm_mode_16_64 3
.end_amdhsa_kernel
.text

/******************************************/
/* Optimizations and Config:              */
/******************************************/
/* ThreadTile= 16 x 16 */
/* SubGroup= 16 x 16 */
/* VectorWidthA=4 */
/* VectorWidthB=2 */
/* GlobalLoadVectorWidthA=4, GlobalLoadVectorWidthB=2 */
/* DirectToLdsA=False */
/* DirectToLdsB=False */
/* UseSgprForGRO=False */
.amdgpu_metadata
---
amdhsa.version:
  - 1
  - 1
amdhsa.target: amdgcn-amd-amdhsa--gfx942
amdhsa.kernels:
  - .name: Cijk_Ailk_Bljk_BBS_BH_MT256x256x64_MI16x16x16x1_SN_1LDSB1_APM1_AF0EM1_AF1EM1_AMAS3_ASE_ASGT_ASLT_ASM_ASAE01_ASCE01_ASEM1_BL1_BS1_CLR1_DTVA1_DTVB0_ETSP_EPS1_ELFLR0_EMLL0_FSSC10_FL0_GLVWA4_GLVWB2_GRCGA1_GRPM0p26_GRVWn1_GSU1_GSUASB_GLS0_IU1_K1_LBSPPA0_LBSPPB256_LPA0_LPB4_LRVW4_LWPMn1_MIAV0_MKFGSU256_NTA0_NTB0_NTC3_NTD3_NEPBS0_NLCA1_NLCB1_ONLL1_PGR1_PLR1_PKA0_SIA3_SLW1_SS1_SU0_SUM0_SUS0_SPO1_SRVW0_SSO0_SVW4_TSGRA0_TSGRB0_TT4_256_TLDS1_UMLDSA0_UMLDSB1_USFGROn1_VAW1_VSn1_VW4_VWB2_VFLRP1_WSGRA0_WSGRB0_WG64_4_1_WGM30
    .symbol: 'Cijk_Ailk_Bljk_BBS_BH_MT256x256x64_MI16x16x16x1_SN_1LDSB1_APM1_AF0EM1_AF1EM1_AMAS3_ASE_ASGT_ASLT_ASM_ASAE01_ASCE01_ASEM1_BL1_BS1_CLR1_DTVA1_DTVB0_ETSP_EPS1_ELFLR0_EMLL0_FSSC10_FL0_GLVWA4_GLVWB2_GRCGA1_GRPM0p26_GRVWn1_GSU1_GSUASB_GLS0_IU1_K1_LBSPPA0_LBSPPB256_LPA0_LPB4_LRVW4_LWPMn1_MIAV0_MKFGSU256_NTA0_NTB0_NTC3_NTD3_NEPBS0_NLCA1_NLCB1_ONLL1_PGR1_PLR1_PKA0_SIA3_SLW1_SS1_SU0_SUM0_SUS0_SPO1_SRVW0_SSO0_SVW4_TSGRA0_TSGRB0_TT4_256_TLDS1_UMLDSA0_UMLDSB1_USFGROn1_VAW1_VSn1_VW4_VWB2_VFLRP1_WSGRA0_WSGRB0_WG64_4_1_WGM30.kd'
    .language:                   OpenCL C
    .language_version:
      - 2
      - 0
    .args:
      - .name:            Tensor2dSizeA
        .size:            8
        .offset:          0
        .value_kind:      by_value
        .value_type:      u64
      - .name:            Tensor2dSizeB
        .size:            8
        .offset:          8
        .value_kind:      by_value
        .value_type:      u64
      - .name:            AddressD
        .size:            8
        .offset:          16
        .value_kind:      by_value
        .value_type:      u64
      - .name:            AddressC
        .size:            8
        .offset:          24
        .value_kind:      by_value
        .value_type:      u64
      - .name:            AddressA
        .size:            8
        .offset:          32
        .value_kind:      by_value
        .value_type:      u64
      - .name:            AddressB
        .size:            8
        .offset:          40
        .value_kind:      by_value
        .value_type:      u64
      - .name:            Alpha
        .size:            4
        .offset:          48
        .value_kind:      by_value
        .value_type:      u32
      - .name:            Beta
        .size:            4
        .offset:          52
        .value_kind:      by_value
        .value_type:      u32
      - .name:            StridesD
        .size:            8
        .offset:          56
        .value_kind:      by_value
        .value_type:      u64
      - .name:            StridesC
        .size:            8
        .offset:          64
        .value_kind:      by_value
        .value_type:      u64
      - .name:            StridesA
        .size:            8
        .offset:          72
        .value_kind:      by_value
        .value_type:      u64
      - .name:            StridesB
        .size:            8
        .offset:          80
        .value_kind:      by_value
        .value_type:      u64
      - .name:            SizesFree
        .size:            12
        .offset:          88
        .value_kind:      by_value
        .value_type:      u96
      - .name:            SizesSum
        .size:            4
        .offset:          100
        .value_kind:      by_value
        .value_type:      u32
      - .name:            NumWorkGroups0
        .size:            4
        .offset:          104
        .value_kind:      by_value
        .value_type:      u32
      - .name:            NumWorkGroups1
        .size:            4
        .offset:          108
        .value_kind:      by_value
        .value_type:      u32
      - .name:            NumFullBlocks
        .size:            4
        .offset:          112
        .value_kind:      by_value
        .value_type:      u32
      - .name:            WgmRemainder1
        .size:            4
        .offset:          116
        .value_kind:      by_value
        .value_type:      u32
      - .name:            MagicNumberWgmRemainder1
        .size:            4
        .offset:          120
        .value_kind:      by_value
        .value_type:      u32
    .group_segment_fixed_size:   33792
    .kernarg_segment_align:      8
    .kernarg_segment_size:       128
    .max_flat_workgroup_size:    256
    .private_segment_fixed_size: 0
    .sgpr_count:                 62
    .sgpr_spill_count:           0
    .vgpr_count:                 256
    .vgpr_spill_count:           0
    .wavefront_size:             64
...
.end_amdgpu_metadata
Cijk_Ailk_Bljk_BBS_BH_MT256x256x64_MI16x16x16x1_SN_1LDSB1_APM1_AF0EM1_AF1EM1_AMAS3_ASE_ASGT_ASLT_ASM_ASAE01_ASCE01_ASEM1_BL1_BS1_CLR1_DTVA1_DTVB0_ETSP_EPS1_ELFLR0_EMLL0_FSSC10_FL0_GLVWA4_GLVWB2_GRCGA1_GRPM0p26_GRVWn1_GSU1_GSUASB_GLS0_IU1_K1_LBSPPA0_LBSPPB256_LPA0_LPB4_LRVW4_LWPMn1_MIAV0_MKFGSU256_NTA0_NTB0_NTC3_NTD3_NEPBS0_NLCA1_NLCB1_ONLL1_PGR1_PLR1_PKA0_SIA3_SLW1_SS1_SU0_SUM0_SUS0_SPO1_SRVW0_SSO0_SVW4_TSGRA0_TSGRB0_TT4_256_TLDS1_UMLDSA0_UMLDSB1_USFGROn1_VAW1_VSn1_VW4_VWB2_VFLRP1_WSGRA0_WSGRB0_WG64_4_1_WGM30:

/******************************************/
/* Asm syntax workarounds                 */
/******************************************/
.macro _v_add_co_u32 dst:req, cc:req, src0:req, src1:req, dpp=
   v_add_co_u32 \dst, \cc, \src0, \src1 \dpp
.endm

.macro _v_add_u32 dst:req, src0:req, src1:req, dpp=
   v_add_u32 \dst, \src0, \src1 \dpp
.endm

.macro _v_add_i32 dst:req, src0:req, src1:req, dpp=
   v_add_i32 \dst, \src0, \src1 \dpp
.endm

.macro _v_addc_co_u32 dst:req, ccOut:req, src0:req, ccIn:req, src1:req, dpp=
   v_addc_co_u32 \dst, \ccOut, \src0, \ccIn, \src1 \dpp
.endm

.macro _v_sub_co_u32 dst:req, cc:req, src0:req, src1:req, dpp=
   v_sub_co_u32 \dst, \cc, \src0, \src1 \dpp
.endm

.macro _v_sub_u32 dst:req, src0:req, src1:req, dpp=
   v_sub_u32 \dst, \src0, \src1 \dpp
.endm

.macro _v_sub_i32 dst:req, src0:req, src1:req, dpp=
   v_sub_i32 \dst, \src0, \src1 \dpp
.endm

.macro _v_add_lshl_u32 dst:req, src0:req, src1:req, shiftCnt:req
    v_add_lshl_u32 \dst, \src0, \src1, \shiftCnt
.endm

.macro _v_lshl_add_u32 dst:req, src0:req, src1:req, shiftCnt:req
    v_lshl_add_u32 \dst, \src0, \src1, \shiftCnt
.endm

.macro _v_lshl_or_b32 dst:req, src0:req, shiftCnt:req, src1:req
    v_lshl_or_b32 \dst, \src0, \shiftCnt, \src1
.endm

.macro _v_dot2acc_f32_f16 dst, src0, src1
v_dot2c_f32_f16 \dst, \src0, \src1
.endm

.macro _v_cmpx_lt_i16 dst, src0, src1=
   v_cmpx_lt_i16 \dst, \src0, \src1 
.endm

.macro _v_cmpx_lt_i32 dst, src0, src1=
   v_cmpx_lt_i32 \dst, \src0, \src1 
.endm

.macro _v_cmpx_lt_i64 dst, src0, src1=
   v_cmpx_lt_i64 \dst, \src0, \src1 
.endm

.macro _v_cmpx_lt_u16 dst, src0, src1=
   v_cmpx_lt_u16 \dst, \src0, \src1 
.endm

.macro _v_cmpx_lt_u32 dst, src0, src1=
   v_cmpx_lt_u32 \dst, \src0, \src1 
.endm

.macro _v_cmpx_lt_u64 dst, src0, src1=
   v_cmpx_lt_u64 \dst, \src0, \src1 
.endm

.macro _v_cmpx_eq_i16 dst, src0, src1=
   v_cmpx_eq_i16 \dst, \src0, \src1 
.endm

.macro _v_cmpx_eq_i32 dst, src0, src1=
   v_cmpx_eq_i32 \dst, \src0, \src1 
.endm

.macro _v_cmpx_eq_i64 dst, src0, src1=
   v_cmpx_eq_i64 \dst, \src0, \src1 
.endm

.macro _v_cmpx_eq_u16 dst, src0, src1=
   v_cmpx_eq_u16 \dst, \src0, \src1 
.endm

.macro _v_cmpx_eq_u32 dst, src0, src1=
   v_cmpx_eq_u32 \dst, \src0, \src1 
.endm

.macro _v_cmpx_eq_u64 dst, src0, src1=
   v_cmpx_eq_u64 \dst, \src0, \src1 
.endm

.macro _v_cmpx_le_i16 dst, src0, src1=
   v_cmpx_le_i16 \dst, \src0, \src1 
.endm

.macro _v_cmpx_le_i32 dst, src0, src1=
   v_cmpx_le_i32 \dst, \src0, \src1 
.endm

.macro _v_cmpx_le_i64 dst, src0, src1=
   v_cmpx_le_i64 \dst, \src0, \src1 
.endm

.macro _v_cmpx_le_u16 dst, src0, src1=
   v_cmpx_le_u16 \dst, \src0, \src1 
.endm

.macro _v_cmpx_le_u32 dst, src0, src1=
   v_cmpx_le_u32 \dst, \src0, \src1 
.endm

.macro _v_cmpx_le_u64 dst, src0, src1=
   v_cmpx_le_u64 \dst, \src0, \src1 
.endm

.macro _v_cmpx_gt_i16 dst, src0, src1=
   v_cmpx_gt_i16 \dst, \src0, \src1 
.endm

.macro _v_cmpx_gt_i32 dst, src0, src1=
   v_cmpx_gt_i32 \dst, \src0, \src1 
.endm

.macro _v_cmpx_gt_i64 dst, src0, src1=
   v_cmpx_gt_i64 \dst, \src0, \src1 
.endm

.macro _v_cmpx_gt_u16 dst, src0, src1=
   v_cmpx_gt_u16 \dst, \src0, \src1 
.endm

.macro _v_cmpx_gt_u32 dst, src0, src1=
   v_cmpx_gt_u32 \dst, \src0, \src1 
.endm

.macro _v_cmpx_gt_u64 dst, src0, src1=
   v_cmpx_gt_u64 \dst, \src0, \src1 
.endm

.macro _v_cmpx_ne_i16 dst, src0, src1=
   v_cmpx_ne_i16 \dst, \src0, \src1 
.endm

.macro _v_cmpx_ne_i32 dst, src0, src1=
   v_cmpx_ne_i32 \dst, \src0, \src1 
.endm

.macro _v_cmpx_ne_i64 dst, src0, src1=
   v_cmpx_ne_i64 \dst, \src0, \src1 
.endm

.macro _v_cmpx_ne_u16 dst, src0, src1=
   v_cmpx_ne_u16 \dst, \src0, \src1 
.endm

.macro _v_cmpx_ne_u32 dst, src0, src1=
   v_cmpx_ne_u32 \dst, \src0, \src1 
.endm

.macro _v_cmpx_ne_u64 dst, src0, src1=
   v_cmpx_ne_u64 \dst, \src0, \src1 
.endm

.macro _v_cmpx_lg_i16 dst, src0, src1=
   v_cmpx_lg_i16 \dst, \src0, \src1 
.endm

.macro _v_cmpx_lg_i32 dst, src0, src1=
   v_cmpx_lg_i32 \dst, \src0, \src1 
.endm

.macro _v_cmpx_lg_i64 dst, src0, src1=
   v_cmpx_lg_i64 \dst, \src0, \src1 
.endm

.macro _v_cmpx_lg_u16 dst, src0, src1=
   v_cmpx_lg_u16 \dst, \src0, \src1 
.endm

.macro _v_cmpx_lg_u32 dst, src0, src1=
   v_cmpx_lg_u32 \dst, \src0, \src1 
.endm

.macro _v_cmpx_lg_u64 dst, src0, src1=
   v_cmpx_lg_u64 \dst, \src0, \src1 
.endm

.macro _v_cmpx_ge_i16 dst, src0, src1=
   v_cmpx_ge_i16 \dst, \src0, \src1 
.endm

.macro _v_cmpx_ge_i32 dst, src0, src1=
   v_cmpx_ge_i32 \dst, \src0, \src1 
.endm

.macro _v_cmpx_ge_i64 dst, src0, src1=
   v_cmpx_ge_i64 \dst, \src0, \src1 
.endm

.macro _v_cmpx_ge_u16 dst, src0, src1=
   v_cmpx_ge_u16 \dst, \src0, \src1 
.endm

.macro _v_cmpx_ge_u32 dst, src0, src1=
   v_cmpx_ge_u32 \dst, \src0, \src1 
.endm

.macro _v_cmpx_ge_u64 dst, src0, src1=
   v_cmpx_ge_u64 \dst, \src0, \src1 
.endm

.macro _v_cmpx_o_i16 dst, src0, src1=
   v_cmpx_o_i16 \dst, \src0, \src1 
.endm

.macro _v_cmpx_o_i32 dst, src0, src1=
   v_cmpx_o_i32 \dst, \src0, \src1 
.endm

.macro _v_cmpx_o_i64 dst, src0, src1=
   v_cmpx_o_i64 \dst, \src0, \src1 
.endm

.macro _v_cmpx_o_u16 dst, src0, src1=
   v_cmpx_o_u16 \dst, \src0, \src1 
.endm

.macro _v_cmpx_o_u32 dst, src0, src1=
   v_cmpx_o_u32 \dst, \src0, \src1 
.endm

.macro _v_cmpx_o_u64 dst, src0, src1=
   v_cmpx_o_u64 \dst, \src0, \src1 
.endm

.macro _v_cmpx_u_i16 dst, src0, src1=
   v_cmpx_u_i16 \dst, \src0, \src1 
.endm

.macro _v_cmpx_u_i32 dst, src0, src1=
   v_cmpx_u_i32 \dst, \src0, \src1 
.endm

.macro _v_cmpx_u_i64 dst, src0, src1=
   v_cmpx_u_i64 \dst, \src0, \src1 
.endm

.macro _v_cmpx_u_u16 dst, src0, src1=
   v_cmpx_u_u16 \dst, \src0, \src1 
.endm

.macro _v_cmpx_u_u32 dst, src0, src1=
   v_cmpx_u_u32 \dst, \src0, \src1 
.endm

.macro _v_cmpx_u_u64 dst, src0, src1=
   v_cmpx_u_u64 \dst, \src0, \src1 
.endm
.macro _v_mac_f32 c:req, a:req, b:req
    v_fmac_f32 \c, \a, \b
.endmacro

/* scale global load macros */
.macro _s_load_b32 dst base offset
    s_load_dword \dst \base \offset
.endm

.macro _s_load_b64 dst base offset
    s_load_dwordx2 \dst \base \offset
.endm

.macro _s_load_b128 dst base offset
    s_load_dwordx4 \dst \base \offset
.endm

.macro _s_load_b256 dst base offset
    s_load_dwordx8 \dst \base \offset
.endm

.macro _s_load_b512 dst base offset
    s_load_dwordx16 \dst \base \offset
.endm


/* ds operation macros */
.macro _ds_load_u8 dst src offset
    ds_read_u8 \dst \src \offset
.endm

.macro _ds_load_u8_d16_hi dst src offset
    ds_read_u8_d16_hi \dst \src \offset
.endm

.macro _ds_load_u16 dst src offset
    ds_read_u16 \dst \src \offset
.endm

.macro _ds_load_u16_d16_hi dst src offset
    ds_read_u16_d16_hi \dst \src \offset
.endm

.macro _ds_load_b32 dst src offset
    ds_read_b32 \dst \src \offset
.endm

.macro _ds_load_b64 dst src offset
    ds_read_b64 \dst \src \offset
.endm

.macro _ds_load_b128 dst src offset
    ds_read_b128 \dst \src \offset
.endm

.macro _ds_store_b8 dst src offset
    ds_write_b8 \dst \src \offset
.endm

.macro _ds_store_b8_d16_hi dst src offset
    ds_write_b8_d16_hi \dst \src \offset
.endm

.macro _ds_store_b16 dst src offset
    ds_write_b16 \dst \src \offset
.endm

.macro _ds_store_b16_d16_hi dst src offset
    ds_write_b16_d16_hi \dst \src \offset
.endm

.macro _ds_store_b32 dst src offset
    ds_write_b32 \dst \src \offset
.endm

.macro _ds_store_b64 dst src offset
    ds_write_b64 \dst \src \offset
.endm

.macro _ds_store_b128 dst src offset
    ds_write_b128 \dst \src \offset
.endm

.macro _ds_load2_b32 dst src offset1 offset2
    ds_read2_b32 \dst \src \offset1 \offset2
.endm

.macro _ds_load2_b64 dst src offset1 offset2
    ds_read2_b64 \dst \src \offset1 \offset2
.endm

.macro _ds_store2_b32 dst src offset1 offset2
    ds_write2_b32 \dst \src \offset1 \offset2
.endm

.macro _ds_store2_b64 dst src offset1 offset2
    ds_write2_b64 \dst \src \offset1 \offset2
.endm


/* buffer memory operation macros */
.macro _buffer_load_b32 dst voffset base soffset offen ioffset md0 md1 md2
    buffer_load_dword \dst \voffset \base \soffset \offen \ioffset \md0 \md1 \md2
.endm

.macro _buffer_load_b64 dst voffset base soffset offen ioffset md0 md1 md2
    buffer_load_dwordx2 \dst \voffset \base \soffset \offen \ioffset \md0 \md1 \md2
.endm

.macro _buffer_load_b96 dst voffset base soffset offen ioffset md0 md1 md2
    buffer_load_dwordx3 \dst \voffset \base \soffset \offen \ioffset \md0 \md1 \md2
.endm

.macro _buffer_load_b128 dst voffset base soffset offen ioffset md0 md1 md2
    buffer_load_dwordx4 \dst \voffset \base \soffset \offen \ioffset \md0 \md1 \md2
.endm

.macro _buffer_load_d16_b16 dst voffset base soffset offen ioffset md0 md1 md2
    buffer_load_short_d16 \dst \voffset \base \soffset \offen \ioffset \md0 \md1 \md2
.endm

.macro _buffer_load_d16_hi_b16 dst voffset base soffset offen ioffset md0 md1 md2
    buffer_load_short_d16_hi \dst \voffset \base \soffset \offen \ioffset \md0 \md1 \md2
.endm

.macro _buffer_load_d16_u8 dst voffset base soffset offen ioffset md0 md1 md2
    buffer_load_ubyte_d16 \dst \voffset \base \soffset \offen \ioffset \md0 \md1 \md2
.endm

.macro _buffer_load_d16_hi_u8 dst voffset base soffset offen ioffset md0 md1 md2
    buffer_load_ubyte_d16_hi \dst \voffset \base \soffset \offen \ioffset \md0 \md1 \md2
.endm

.macro _buffer_load_u16 dst voffset base soffset offen ioffset md0 md1 md2
    buffer_load_ushort \dst \voffset \base \soffset \offen \ioffset \md0 \md1 \md2
.endm

.macro _buffer_load_b32_dtl voffset base soffset offen ioffset md0 md1 md2
    buffer_load_dword \voffset \base \soffset \offen \ioffset \md0 \md1 \md2
.endm

.macro _buffer_load_b64_dtl voffset base soffset offen ioffset md0 md1 md2
    buffer_load_dwordx2 \voffset \base \soffset \offen \ioffset \md0 \md1 \md2
.endm

.macro _buffer_load_b128_dtl voffset base soffset offen ioffset md0 md1 md2
    buffer_load_dwordx4 \voffset \base \soffset \offen \ioffset \md0 \md1 \md2
.endm

.macro _buffer_load_u16_dtl voffset base soffset offen ioffset md0 md1 md2
    buffer_load_ushort \voffset \base \soffset \offen \ioffset \md0 \md1 \md2
.endm

.macro _buffer_store_b32 src voffset base soffset offen ioffset md0 md1 md2
    buffer_store_dword \src \voffset \base \soffset \offen \ioffset \md0 \md1 \md2
.endm

.macro _buffer_store_b64 src voffset base soffset offen ioffset md0 md1 md2
    buffer_store_dwordx2 \src \voffset \base \soffset \offen \ioffset \md0 \md1 \md2
.endm

.macro _buffer_store_b96 src voffset base soffset offen ioffset md0 md1 md2
    buffer_store_dwordx3 \src \voffset \base \soffset \offen \ioffset \md0 \md1 \md2
.endm

.macro _buffer_store_b128 src voffset base soffset offen ioffset md0 md1 md2
    buffer_store_dwordx4 \src \voffset \base \soffset \offen \ioffset \md0 \md1 \md2
.endm

.macro _buffer_store_b16 src voffset base soffset offen ioffset md0 md1 md2
    buffer_store_short \src \voffset \base \soffset \offen \ioffset \md0 \md1 \md2
.endm

.macro _buffer_store_d16_hi_b16 src voffset base soffset offen ioffset md0 md1 md2
    buffer_store_short_d16_hi \src \voffset \base \soffset \offen \ioffset \md0 \md1 \md2
.endm

.macro _buffer_store_b8 src voffset base soffset offen ioffset md0 md1 md2
    buffer_store_byte \src \voffset \base \soffset \offen \ioffset \md0 \md1 \md2
.endm

.macro _buffer_store_d16_hi_b8 src voffset base soffset offen ioffset md0 md1 md2
    buffer_store_byte_d16_hi \src \voffset \base \soffset \offen \ioffset \md0 \md1 \md2
.endm

.macro _buffer_atomic_cmpswap_b32 dst voffset base soffset offen ioffset md0 md1 md2
    buffer_atomic_cmpswap \dst \voffset \base \soffset \offen \ioffset \md0 \md1 \md2
.endm

.macro _buffer_atomic_cmpswap_b64 dst voffset base soffset offen ioffset md0 md1 md2
    buffer_atomic_cmpswap_x2 \dst \voffset \base \soffset \offen \ioffset \md0 \md1 \md2
.endm


/* buffer memory operation macros */
.macro _global_load_b32 dst base src ioffset md0 md1 md2
    global_load_dword \dst \base \src \ioffset \md0 \md1 \md2
.endm

.macro _global_load_b64 dst base src ioffset md0 md1 md2
    global_load_dwordx2 \dst \base \src \ioffset \md0 \md1 \md2
.endm

.macro _global_load_b96 dst base src ioffset md0 md1 md2
    global_load_dwordx3 \dst \base \src \ioffset \md0 \md1 \md2
.endm

.macro _global_load_b128 dst base src ioffset md0 md1 md2
    global_load_dwordx4 \dst \base \src \ioffset \md0 \md1 \md2
.endm

.macro _global_load_d16_b16 dst base src ioffset md0 md1 md2
    global_load_short_d16 \dst \base \src \ioffset \md0 \md1 \md2
.endm

.macro _global_load_d16_hi_b16 dst base src ioffset md0 md1 md2
    global_load_short_d16_hi \dst \base \src \ioffset \md0 \md1 \md2
.endm

.macro _global_load_d16_u8 dst base src ioffset md0 md1 md2
    global_load_ubyte_d16 \dst \base \src \ioffset \md0 \md1 \md2
.endm

.macro _global_load_d16_hi_u8 dst base src ioffset md0 md1 md2
    global_load_ubyte_d16_hi \dst \base \src \ioffset \md0 \md1 \md2
.endm

.macro _global_load_u16 dst base src ioffset md0 md1 md2
    global_load_ushort \dst \base \src \ioffset \md0 \md1 \md2
.endm

.macro _global_store_b32 base src src2 md0 md1 md2
    global_store_dword \base \src \src2 \md0 \md1 \md2
.endm

.macro _global_store_b64 base src src2 md0 md1 md2
    global_store_dwordx2 \base \src \src2 \md0 \md1 \md2
.endm

.macro _global_store_b96 base src src2 md0 md1 md2
    global_store_dwordx3 \base \src \src2 \md0 \md1 \md2
.endm

.macro _global_store_b128 base src src2 md0 md1 md2
    global_store_dwordx4 \base \src \src2 \md0 \md1 \md2
.endm

.macro _global_store_d16_b16 base src src2 md0 md1 md2
    global_store_short \base \src \src2 \md0 \md1 \md2
.endm

.macro _global_store_d16_hi_b16 base src src2 md0 md1 md2
    global_store_short_d16_hi \base \src \src2 \md0 \md1 \md2
.endm

.macro _global_store_d16_u8 base src src2 md0 md1 md2
    global_store_ubyte_d16 \base \src \src2 \md0 \md1 \md2
.endm

.macro _global_store_d16_hi_u8 base src src2 md0 md1 md2
    global_store_ubyte_d16_hi \base \src \src2 \md0 \md1 \md2
.endm

.macro _global_store_u16 base src src2 md0 md1 md2
    global_store_ushort \base \src \src2 \md0 \md1 \md2
.endm

.macro _global_atomic_cmpswap_b32 tmp base data src ioffset md
    global_atomic_cmpswap \tmp \base \data \src \ioffset \md
.endm

.macro _global_atomic_cmpswap_b64 tmp base data src ioffset md
    global_atomic_cmpswap_x2 \tmp \base \data \src \ioffset \md
.endm


/******************************************/
/* Magic div and mod functions            */
/******************************************/
.macro V_MAGIC_DIV dstIdx:req, dividend:req, magicNumber:req, magicShift:req, magicA:req
    v_mul_hi_u32 v[\dstIdx+1], \dividend, \magicNumber
    v_mul_lo_u32 v[\dstIdx+0], \dividend, \magicA
    _v_add_u32 v[\dstIdx+0], v[\dstIdx+0], v[\dstIdx+1]
    v_lshrrev_b32 v[\dstIdx+0], \magicShift, v[\dstIdx+0]
.endm

/******************************************/
/* VGPR Assignments                       */
/******************************************/
/* ValuC range: [0-0), serializedStore enabled */
.set vgprValuC, 0
/* ValuA/B   Xn=PLR buffer idx,  In=InnerUnroll idx */
.set vgprValuA_X0_I0, 0
.set vgprValuA_X1_I0, 0
.set vgprValuA_X2_I0, 0
.set vgprValuA_X3_I0, 0
.set vgprValuA_X4_I0, 0
.set vgprValuA_X5_I0, 0
.set vgprValuA_X6_I0, 0
.set vgprValuA_X7_I0, 0
.set vgprValuA_X0_I0_D0, 8
.set vgprValuA_X0_I0_D1, 10
.set vgprValuA_X0_I0_D2, 12
.set vgprValuA_X0_I0_D3, 14
.set vgprValuA_X1_I0_D0, 16
.set vgprValuA_X1_I0_D1, 18
.set vgprValuA_X1_I0_D2, 20
.set vgprValuA_X1_I0_D3, 22
.set vgprValuA_X2_I0_D0, 24
.set vgprValuA_X2_I0_D1, 26
.set vgprValuA_X2_I0_D2, 28
.set vgprValuA_X2_I0_D3, 30
.set vgprValuA_X3_I0_D0, 32
.set vgprValuA_X3_I0_D1, 34
.set vgprValuA_X3_I0_D2, 36
.set vgprValuA_X3_I0_D3, 38
.set vgprValuA_X4_I0_D0, 40
.set vgprValuA_X4_I0_D1, 42
.set vgprValuA_X4_I0_D2, 44
.set vgprValuA_X4_I0_D3, 46
.set vgprValuA_X5_I0_D0, 48
.set vgprValuA_X5_I0_D1, 50
.set vgprValuA_X5_I0_D2, 52
.set vgprValuA_X5_I0_D3, 54
.set vgprValuA_X6_I0_D0, 56
.set vgprValuA_X6_I0_D1, 58
.set vgprValuA_X6_I0_D2, 60
.set vgprValuA_X6_I0_D3, 62
.set vgprValuA_X7_I0_D0, 64
.set vgprValuA_X7_I0_D1, 66
.set vgprValuA_X7_I0_D2, 68
.set vgprValuA_X7_I0_D3, 70
.set vgprG2LA, 8
.set vgprG2LA0, 8
.set vgprG2LA1, 40
.set vgprValuB_X0_I0, 72
.set vgprValuB_X1_I0, 104
.set vgprG2LB, 186
.set vgprLocalWriteAddrB, 136
.set vgprGlobalReadOffsetA, 137
.set vgprGlobalReadOffsetB, 153
.set vgprLocalReadAddrB, 218
.set vgprSerial, 219
/* Num VGPR=256 */
/* Num AccVGPR=256 */

/******************************************/
/* SGPR Assignments                       */
/******************************************/
.set sgprKernArgAddress, 0 // (2)
.set sgprWorkGroup0, 2 // (1)
.set sgprWorkGroup1, 3 // (1)
.set sgprWorkGroup2, 4 // (1)
.set sgprLoopCounterL, 5 // (1)
.set sgprOrigLoopCounter, 6 // (1)
.set sgprSrdA, 8 // (4)
.set sgprSrdB, 12 // (4)
.set sgprSrdD, 16 // (4)
.set sgprSrdC, 20 // (4)
.set sgprTensor2dSizeA, 24 // (2)
.set sgprTensor2dSizeB, 26 // (2)
.set sgprAddressD, 28 // (2)
.set sgprAddressC, 30 // (2)
.set sgprAddressA, 32 // (2)
.set sgprAddressB, 34 // (2)
.set sgprAlpha, 36 // (1)
.set sgprBeta, 37 // (1)
.set sgprStridesD, 38 // (2)
.set sgprStridesC, 40 // (2)
.set sgprStridesA, 42 // (2)
.set sgprStridesB, 44 // (2)
.set sgprSizesFree, 46 // (3)
.set sgprSizesSum, 49 // (1)
.set sgprNumWorkGroups0, 50 // (1)
.set sgprNumWorkGroups1, 51 // (1)
.set sgprNumFullBlocks, 52 // (1)
.set sgprWgmRemainder1, 53 // (1)
.set sgprMagicNumberWgmRemainder1, 54 // (1)
.set sgprShadowLimitA, 0 // (2)
.set sgprShadowLimitB, 28 // (2)
.set sgprGlobalReadIncsA, 7 // (1)
.set sgprGlobalReadIncsB, 30 // (1)
.set sgprPackKForV0, 31 // (1)
.set sgprPackKForV1, 32 // (1)
/* max SGPR=62 */

/* Size Assignments */
.set sgprSizeI, sgprSizesFree+0
.set sgprSizeJ, sgprSizesFree+1
.set sgprSizeK, sgprSizesFree+2
.set sgprSizeL, sgprSizesSum+0

/* Stride Assignments */
.set constStrideD0I, 1
.set sgprStrideD1J, sgprStridesD+0
.set sgprStrideDK, sgprStridesD+1
.set constStrideC0I, 1
.set sgprStrideC1J, sgprStridesC+0
.set sgprStrideCK, sgprStridesC+1
.set constStrideA0I, 1
.set sgprStrideAL, sgprStridesA+0
.set sgprStrideAK, sgprStridesA+1
.set constStrideBL, 1
.set sgprStrideB1J, sgprStridesB+0
.set sgprStrideBK, sgprStridesB+1

.set MT0, 256
.set MT1, 256
.set DepthU, 64
.set GSU, 1
.set BpeA, 2
.set BpeALog2, 1
.set BpeB, 2
.set BpeBLog2, 1
/* Number of elements to shift-left SRD */
.set SrdShiftLeftA, 4
.set SrdShiftLeftB, 2
/* 2GB limit - set offsets to -1 to exceed this and clamp */
.set BufferLimitA, 0xffffffff
.set BufferLimitB, 0xffffffff
.set BufferOOB, 0xfffff000

/******************************************/
/* Bits 127:96 of SRD.                    */
/* hex: 0x00020000                        */
/* dst_sel_x (3b): 0                      */
/* dst_sel_y (3b): 0                      */
/* dst_sel_z (3b): 0                      */
/* dst_sel_w (3b): 0                      */
/* num_format (3b): 0                     */
/* data_format (4b): 4                    */
/* user_vm_enable (1b): 0                 */
/* user_vm_mode (1b): 0                   */
/* index_stride (2b): 0                   */
/* add_tid_enable (1b): 0                 */
/* _unusedA (3b): 0                       */
/* nv (1b): 0                             */
/* _unusedB (2b): 0                       */
/* type (2b): 0                           */
/******************************************/
.set Srd127_96, 0x00020000

/* Global Offset A */
.macro GLOBAL_OFFSET_A vgprAddr:req vgprOffset0I:req vgprOffsetL:req vgprTmp:req
v_mul_lo_u32 v[\vgprTmp+0], s[sgprStrideAL], v[\vgprOffsetL] // mul d1 lower
_v_add_co_u32 v[\vgprAddr+0], vcc, v[\vgprOffset0I], v[\vgprTmp+0] // accumulate K lower
_v_add_u32 v[\vgprAddr+0], 0x4, v[\vgprAddr+0]     // add prepad for pointer shift
v_lshlrev_b32 v[\vgprAddr+0], 0x1, v[\vgprAddr+0]  // offset *= bytes/element
.endm

/* Global Offset B */
.macro GLOBAL_OFFSET_B vgprAddr:req vgprOffsetL:req vgprOffset1J:req vgprTmp:req
v_mul_lo_u32 v[\vgprTmp+0], s[sgprStrideB1J], v[\vgprOffset1J] // mul d1 lower
_v_add_co_u32 v[\vgprAddr+0], vcc, v[\vgprOffsetL], v[\vgprTmp+0] // accumulate K lower
_v_add_u32 v[\vgprAddr+0], 0x2, v[\vgprAddr+0]     // add prepad for pointer shift
v_lshlrev_b32 v[\vgprAddr+0], 0x1, v[\vgprAddr+0]  // offset *= bytes/element
.endm

/******************************************/
/* Dynamic Scalar Divide: vQuotient=vDividend/vDivisor; vRemainder=vDividend%vDivisor; */
/******************************************/
.macro DYNAMIC_VECTOR_DIVIDE vQuotient vRemainder vDividend vDivisor vTmp0 vTmp1 sTmp
v_cvt_f32_u32 v[\vQuotient], v[\vDivisor]          // 
v_rcp_f32 v[\vQuotient], v[\vQuotient]             // 
v_mul_f32 v[\vQuotient], 0x4f800000, v[\vQuotient] // 
v_cvt_u32_f32 v[\vQuotient], v[\vQuotient]         // 
v_mul_lo_u32 v[\vRemainder], v[\vDivisor], v[\vQuotient] // 
v_mul_hi_u32 v[\vTmp0], v[\vDivisor], v[\vQuotient] // 
_v_sub_co_u32 v[\vTmp1], vcc, 0x0, v[\vRemainder]  // 
v_cmp_ne_i32 s[\sTmp:\sTmp+1], 0x0, v[\vTmp0]      // 
v_cndmask_b32 v[\vRemainder], v[\vTmp1], v[\vRemainder], s[\sTmp:\sTmp+1] // 
v_mul_hi_u32 v[\vRemainder], v[\vRemainder], v[\vQuotient] // 
_v_sub_co_u32 v[\vTmp0], vcc, v[\vQuotient], v[\vRemainder] // 
_v_add_co_u32 v[\vQuotient], vcc, v[\vQuotient], v[\vRemainder] // 
v_cndmask_b32 v[\vQuotient], v[\vQuotient], v[\vTmp0], s[\sTmp:\sTmp+1] // 
v_mul_hi_u32 v[\vQuotient], v[\vQuotient], v[\vDividend] // 
v_mul_lo_u32 v[\vRemainder], v[\vQuotient], v[\vDivisor] // 
_v_sub_co_u32 v[\vTmp0], vcc, v[\vDividend], v[\vRemainder] // 
v_cmp_ge_u32 s[\sTmp:\sTmp+1], v[\vDividend], v[\vRemainder] // 
_v_add_co_u32 v[\vRemainder], vcc, 0x1, v[\vQuotient] // 
_v_add_co_u32 v[\vTmp1], vcc, -1, v[\vQuotient]    // 
v_cmp_le_u32 vcc, v[\vDivisor], v[\vTmp0]          // 
s_and_b64 vcc, s[\sTmp:\sTmp+1], vcc               // 
v_cndmask_b32 v[\vQuotient], v[\vQuotient], v[\vRemainder], vcc // 
v_cndmask_b32 v[\vQuotient], v[\vTmp1], v[\vQuotient], s[\sTmp:\sTmp+1] // 
v_cmp_ne_i32 vcc, 0x0, v[\vDivisor]                // 
v_cndmask_b32 v[\vQuotient], -1, v[\vQuotient], vcc // final result
v_mul_lo_u32 v[\vRemainder], v[\vQuotient], v[\vDivisor] // 
_v_sub_co_u32 v[\vRemainder], vcc, v[\vDividend], v[\vRemainder] // final result
.endm


	;; [unrolled: 1-line block ×3, first 2 shown]
/******************************************/
/* Allocate Resources                     */
/******************************************/

Cijk_Ailk_Bljk_BBS_BH_MT256x256x64_MI16x16x16x1_SN_1LDSB1_APM1_AF0EM1_AF1EM1_AMAS3_ASE_ASGT_ASLT_ASM_ASAE01_ASCE01_ASEM1_BL1_BS1_CLR1_DTVA1_DTVB0_ETSP_EPS1_ELFLR0_EMLL0_FSSC10_FL0_GLVWA4_GLVWB2_GRCGA1_GRPM0p26_GRVWn1_GSU1_GSUASB_GLS0_IU1_K1_LBSPPA0_LBSPPB256_LPA0_LPB4_LRVW4_LWPMn1_MIAV0_MKFGSU256_NTA0_NTB0_NTC3_NTD3_NEPBS0_NLCA1_NLCB1_ONLL1_PGR1_PLR1_PKA0_SIA3_SLW1_SS1_SU0_SUM0_SUS0_SPO1_SRVW0_SSO0_SVW4_TSGRA0_TSGRB0_TT4_256_TLDS1_UMLDSA0_UMLDSB1_USFGROn1_VAW1_VSn1_VW4_VWB2_VFLRP1_WSGRA0_WSGRB0_WG64_4_1_WGM30_preloaded: // Kernel start when preloading
s_setprio 3                                        // optimization store

/* Load Kernel Args */
_s_load_b512 s[24:39], s[sgprKernArgAddress:sgprKernArgAddress+1], 0x0 // 
_s_load_b256 s[40:47], s[sgprKernArgAddress:sgprKernArgAddress+1], 0x40 // 
_s_load_b128 s[48:51], s[sgprKernArgAddress:sgprKernArgAddress+1], 0x60 // 
_s_load_b64 s[52:53], s[sgprKernArgAddress:sgprKernArgAddress+1], 0x70 // 
_s_load_b32 s54, s[sgprKernArgAddress:sgprKernArgAddress+1], 0x78 // 
s_mov_b32 m0, 0x8400                               // LDS clamp at 33792 bytes
v_mov_b32 v[vgprSerial], v0                        // thread serial id

/******************************************/
/* Local Read Addresses                   */
/******************************************/


/* local read addresses: tile assignments a/b */

/*lr1J*/
v_and_b32 v1, 63, v[vgprSerial]                    // 0. thread id in wave: wtid = tid % wavelength(64)
v_and_b32 v0, 15, v1                               // 1. N offset: nIdx = wtid % MI_N(16)
v_lshlrev_b32 v0, 0x6, v0                          // 1. N offset: nOffset = nIdx * nStride(64)
                                                   // 2. block offset: bnIdx = bnIdx % num1DBlocks(1) is 0. do nothing
v_lshlrev_b32 v0, 0x1, v0                          // 4. apply VectorWidth: bnOffset = bnOffset * vw(2)
v_lshrrev_b32 v1, 4, v1                            // 5. K offset: kIdx = wtid / (MIN(16) * MIBB(1))
v_lshlrev_b32 v1, 0x2, v1                          // 5. K offset: lrKOffset = kIdx * mStride(4)
_v_add_u32 v0, v1, v0                              // 6. offset in wave: lrOffset = bnOffset + lrKOffset


/* local read addresses: final offsets a */


	;; [unrolled: 1-line block ×3, first 2 shown]
/* local read addresses: final offsets b */

v_lshlrev_b32 v[vgprLocalReadAddrB], 0x1, v0       // Final Offset: offset = (lro1)*bpe
v_lshrrev_b32 v0, 8, v[vgprLocalReadAddrB]         // Final Offset: padding 4 per block 256
v_lshlrev_b32 v0, 0x3, v0                          // Final Offset: padding 4 per block 256
_v_add_u32 v[vgprLocalReadAddrB], v0, v[vgprLocalReadAddrB] // Final Offset: add padding 4 per block 256


/* local read addresses: declare addresses a */

/* N/A */


/* local read addresses: declare addresses b */


	;; [unrolled: 1-line block ×3, first 2 shown]
/* global read addresses: tile offset assignment a */

/* LVCA = 64 */
/* v0 = (local)groA-tile = serial%LVCA (note (wgA*MTA) will be added to SRD) */
/* v1 = groA-unroll = serial/LVCA */
v_and_b32 v1, 63, v[vgprSerial]                    // 0. thread id in wave: wtid = tid % wavelength(64)
v_and_b32 v0, 15, v1                               // 1. N offset: nIdx = wtid % MI_N(16)
                                                   // 1. N offset: nOffset = nIdx * nStride(1) (multiplier is 1, do nothing)
                                                   // 2. block offset: bnIdx = bnIdx % num1DBlocks(1) is 0. do nothing
                                                   // 4. apply VectorWidth: bnOffset = bnOffset * vw(1) (multiplier is 1, do nothing)
v_lshrrev_b32 v1, 4, v1                            // 5. K offset: kIdx = wtid / (MIN(16) * MIBB(1))
v_lshrrev_b32 v3, 6, v[vgprSerial]                 // v3 = v[vgprSerial] / 64
v_and_b32 v2, 3, v3                                // v2 = v3 % 4
v_lshlrev_b32 v2, 0x4, v2                          // v2 = v2 * 16
_v_add_u32 v0, v2, v0                              // 
v_lshlrev_b32 v1, 0x2, v1                          // v1 = v1 * 4
/* gro-tile *= glvw */
v_lshlrev_b32 v0, 0x2, v0                          // v0 = v0 * 4


/* global read addresses: tile offset assignment b */

/* LVCB = 32 */
/* v2 = (local)groB-tile = serial/LVCB (note (wgB*MTB) will be added to SRD) */
/* v3 = groB-unroll = serial%LVCB */
v_lshrrev_b32 v2, 5, v[vgprSerial]                 // v2 = v[vgprSerial] / 32
v_and_b32 v3, 31, v[vgprSerial]                    // v3 = v[vgprSerial] % 32
/* gro-unroll *= glvw */
v_lshlrev_b32 v3, 0x1, v3                          // v3 = v3 * 2


/******************************************/
/* Local Write Addresses                  */
/******************************************/

/* lwaTileAssignmentA = v0 */

/* lwaTileAssignmentB = v2 */

/* lwaUnrollAssignmentA = v1 */

/* lwaUnrollAssignmentB = v3 */


/* local write addresses: first offset a */


	;; [unrolled: 1-line block ×3, first 2 shown]
/* local write addresses: first offset b */

v_mul_u32_u24 v[vgprLocalWriteAddrB], 0x40, v2     // lwBL**(DepthU_Compute + PAD)
_v_add_lshl_u32 v[vgprLocalWriteAddrB], v3, v[vgprLocalWriteAddrB], 0x1 // lwFOB = (lwBB + lwBL*(DepthU+PAD))*bpe
v_lshrrev_b32 v4, 8, v[vgprLocalWriteAddrB]        // padding 4 per block 256
v_lshlrev_b32 v4, 0x3, v4                          // padding 4 per block 256
_v_add_u32 v[vgprLocalWriteAddrB], v4, v[vgprLocalWriteAddrB] // add padding 4 per block 256


	;; [unrolled: 1-line block ×7, first 2 shown]
s_waitcnt lgkmcnt(0)                               // wait for 124 bytes of kern args
s_mov_b64 s[sgprSrdC+0:sgprSrdC+0+1], s[sgprAddressC+0:sgprAddressC+0+1] // copy addressC
s_mov_b64 s[sgprSrdD+0:sgprSrdD+0+1], s[sgprAddressD+0:sgprAddressD+0+1] // copy addressD
s_sub_u32 s[sgprSrdA+0], s[sgprAddressA+0], 8      // pre-pad to make room for possible pointer shift
s_subb_u32 s[sgprSrdA+1], s[sgprAddressA+1], 0     // pre-pad to make room for possible pointer shift
s_sub_u32 s[sgprSrdB+0], s[sgprAddressB+0], 4      // pre-pad to make room for possible pointer shift
s_subb_u32 s[sgprSrdB+1], s[sgprAddressB+1], 0     // pre-pad to make room for possible pointer shift

.set AddressD, UNDEF
.set AddressC, UNDEF
.set AddressA, UNDEF
.set AddressB, UNDEF

/* Short circuit condition if Alpha == 0, then sumDims=0 */
v_cmp_eq_f32 vcc, s[sgprAlpha], 0.0                // Alpha == 0.0f ?
s_cbranch_vccz label_AlphaNonZero                  // branch if alpha != 0
s_mov_b32 s[sgprSizesSum+0], 0x0                   // Set summation dim=0 if Alpha == 0
label_AlphaNonZero:
s_mov_b32 s[sgprPackKForV0], 0x05040100            // half pack value 0 for v_perm_b32
s_mov_b32 s[sgprPackKForV1], 0x07060302            // half pack value 1 for v_perm_b32


	;; [unrolled: 1-line block ×3, first 2 shown]
/******************************************/
/* Begin setupNewTile, isPap=False           */
/******************************************/


/* global read addresses: work-group */

/* graWorkGroup mapping */
s_mov_b32 s61, 0x4444445L                          // magic number for WGM==30
s_mul_hi_u32 s59, s[sgprWorkGroup1], s61           // s_magic mul
s_mul_i32 s58, s[sgprWorkGroup1], s61              // s_magic mul
s_lshr_b64 s[58:59], s[58:59], 31                  // sMagicDiv
s_mul_i32 s59, s58, 30                             // quotient * non-magic divisor
s_sub_u32 s59, s[sgprWorkGroup1], s59              // WorkGroup1=remainder
s_mul_i32 s59, s59, s[sgprNumWorkGroups0]          // (wg1 % WGM)*nwg0
s_add_u32 s59, s59, s[sgprWorkGroup0]              // wgSerial = wg0 + (wg1 % WGM)*nwg1
s_cmp_ge_u32 s58, s[sgprNumFullBlocks]             // blockId >= numFullBlocks ?
s_cmov_b32 s61, s[sgprMagicNumberWgmRemainder1]    // 
s_cselect_b32 s60, s[sgprWgmRemainder1], 30        // 
s_mul_hi_u32 s3, s59, s61                          // s_magic mul
s_mul_i32 s2, s59, s61                             // s_magic mul
s_lshr_b64 s[2:3], s[2:3], 31                      // sMagicDiv
s_mul_i32 s[sgprWorkGroup1], s[sgprWorkGroup0], s60 // quotient * non-magic divisor
s_sub_u32 s[sgprWorkGroup1], s59, s[sgprWorkGroup1] // WorkGroup1=remainder
s_mul_i32 s58, s58, 30                             // blockId * WGM
s_add_u32 s[sgprWorkGroup1], s[sgprWorkGroup1], s58 // wg1 += blockId * WGM


/* global read addresses: unroll assignment a */

/* v1 */


/* global read addresses: unroll assignment b */

/* v3 */


/* global read addresses: other free assignments */

/* s[sgprWorkGroup2] */


/* global read addresses: tile offsets a */

v_mov_b32 v4, v0                                   // groA0I_0


/* global read addresses: tile offsets b */

v_mov_b32 v5, v2                                   // groB1J_0
_v_add_co_u32 v6, vcc, 8, v5                       // groB1J_1 += LSPB
_v_add_co_u32 v7, vcc, 8, v6                       // groB1J_2 += LSPB
_v_add_co_u32 v8, vcc, 8, v7                       // groB1J_3 += LSPB
_v_add_co_u32 v9, vcc, 8, v8                       // groB1J_4 += LSPB
_v_add_co_u32 v10, vcc, 8, v9                      // groB1J_5 += LSPB
_v_add_co_u32 v11, vcc, 8, v10                     // groB1J_6 += LSPB
_v_add_co_u32 v12, vcc, 8, v11                     // groB1J_7 += LSPB
_v_add_co_u32 v13, vcc, 8, v12                     // groB1J_8 += LSPB
_v_add_co_u32 v14, vcc, 8, v13                     // groB1J_9 += LSPB
_v_add_co_u32 v15, vcc, 8, v14                     // groB1J_10 += LSPB
_v_add_co_u32 v16, vcc, 8, v15                     // groB1J_11 += LSPB
_v_add_co_u32 v17, vcc, 8, v16                     // groB1J_12 += LSPB
_v_add_co_u32 v18, vcc, 8, v17                     // groB1J_13 += LSPB
_v_add_co_u32 v19, vcc, 8, v18                     // groB1J_14 += LSPB
_v_add_co_u32 v20, vcc, 8, v19                     // groB1J_15 += LSPB
_v_add_co_u32 v21, vcc, 8, v20                     // groB1J_16 += LSPB
_v_add_co_u32 v22, vcc, 8, v21                     // groB1J_17 += LSPB
_v_add_co_u32 v23, vcc, 8, v22                     // groB1J_18 += LSPB
_v_add_co_u32 v24, vcc, 8, v23                     // groB1J_19 += LSPB
_v_add_co_u32 v25, vcc, 8, v24                     // groB1J_20 += LSPB
_v_add_co_u32 v26, vcc, 8, v25                     // groB1J_21 += LSPB
_v_add_co_u32 v27, vcc, 8, v26                     // groB1J_22 += LSPB
_v_add_co_u32 v28, vcc, 8, v27                     // groB1J_23 += LSPB
_v_add_co_u32 v29, vcc, 8, v28                     // groB1J_24 += LSPB
_v_add_co_u32 v30, vcc, 8, v29                     // groB1J_25 += LSPB
_v_add_co_u32 v31, vcc, 8, v30                     // groB1J_26 += LSPB
_v_add_co_u32 v32, vcc, 8, v31                     // groB1J_27 += LSPB
_v_add_co_u32 v33, vcc, 8, v32                     // groB1J_28 += LSPB
_v_add_co_u32 v34, vcc, 8, v33                     // groB1J_29 += LSPB
_v_add_co_u32 v35, vcc, 8, v34                     // groB1J_30 += LSPB
_v_add_co_u32 v36, vcc, 8, v35                     // groB1J_31 += LSPB


/* global read addresses: unroll offsets a */

v_mov_b32 v37, v1                                  // groAL_0
_v_add_co_u32 v38, vcc, 1, v37                     // groAL_1 + LSPA
_v_add_co_u32 v39, vcc, 1, v38                     // groAL_2 + LSPA
_v_add_co_u32 v40, vcc, 1, v39                     // groAL_3 + LSPA
_v_add_co_u32 v41, vcc, 13, v40                    // groAL_4 + LSPA
_v_add_co_u32 v42, vcc, 1, v41                     // groAL_5 + LSPA
_v_add_co_u32 v43, vcc, 1, v42                     // groAL_6 + LSPA
_v_add_co_u32 v44, vcc, 1, v43                     // groAL_7 + LSPA
_v_add_co_u32 v45, vcc, 13, v44                    // groAL_8 + LSPA
_v_add_co_u32 v46, vcc, 1, v45                     // groAL_9 + LSPA
_v_add_co_u32 v47, vcc, 1, v46                     // groAL_10 + LSPA
_v_add_co_u32 v48, vcc, 1, v47                     // groAL_11 + LSPA
_v_add_co_u32 v49, vcc, 13, v48                    // groAL_12 + LSPA
_v_add_co_u32 v50, vcc, 1, v49                     // groAL_13 + LSPA
_v_add_co_u32 v51, vcc, 1, v50                     // groAL_14 + LSPA
_v_add_co_u32 v52, vcc, 1, v51                     // groAL_15 + LSPA


/* global read addresses: unroll offsets b */

v_mov_b32 v53, v3                                  // groBL_0


/* global read addresses: shift a */

s_mul_i32 s33, s[sgprWorkGroup0], 256              // WorkGroup[01] * MT
s_sub_u32 s33, s[sgprSizeI], s33                   // edge = Size0I - WG*MT
s_sub_u32 s33, s33, 4                              // edge -= margin(4)
v_mov_b32 v54, s33                                 // edge vgpr = Size0I- WG*MT - margin(4)
v_min_i32 v4, v54, v4                              // offset = (offset < edge) ? offset(v4) : edge(v54)


/* global read addresses: final offsets a */

GLOBAL_OFFSET_A vgprGlobalReadOffsetA+0,  4, 37, 54 // gROA_0_0_0_0
GLOBAL_OFFSET_A vgprGlobalReadOffsetA+1,  4, 38, 54 // gROA_0_0_1_0
GLOBAL_OFFSET_A vgprGlobalReadOffsetA+2,  4, 39, 54 // gROA_0_0_2_0
GLOBAL_OFFSET_A vgprGlobalReadOffsetA+3,  4, 40, 54 // gROA_0_0_3_0
GLOBAL_OFFSET_A vgprGlobalReadOffsetA+4,  4, 41, 54 // gROA_0_0_4_0
GLOBAL_OFFSET_A vgprGlobalReadOffsetA+5,  4, 42, 54 // gROA_0_0_5_0
GLOBAL_OFFSET_A vgprGlobalReadOffsetA+6,  4, 43, 54 // gROA_0_0_6_0
GLOBAL_OFFSET_A vgprGlobalReadOffsetA+7,  4, 44, 54 // gROA_0_0_7_0
GLOBAL_OFFSET_A vgprGlobalReadOffsetA+8,  4, 45, 54 // gROA_0_0_8_0
GLOBAL_OFFSET_A vgprGlobalReadOffsetA+9,  4, 46, 54 // gROA_0_0_9_0
GLOBAL_OFFSET_A vgprGlobalReadOffsetA+10,  4, 47, 54 // gROA_0_0_10_0
GLOBAL_OFFSET_A vgprGlobalReadOffsetA+11,  4, 48, 54 // gROA_0_0_11_0
GLOBAL_OFFSET_A vgprGlobalReadOffsetA+12,  4, 49, 54 // gROA_0_0_12_0
GLOBAL_OFFSET_A vgprGlobalReadOffsetA+13,  4, 50, 54 // gROA_0_0_13_0
GLOBAL_OFFSET_A vgprGlobalReadOffsetA+14,  4, 51, 54 // gROA_0_0_14_0
GLOBAL_OFFSET_A vgprGlobalReadOffsetA+15,  4, 52, 54 // gROA_0_0_15_0


/* global read addresses: final offsets b */

GLOBAL_OFFSET_B vgprGlobalReadOffsetB+0, 53,  5, 37 // gROB_0_0_0_0
GLOBAL_OFFSET_B vgprGlobalReadOffsetB+1, 53,  6, 37 // gROB_0_0_1_0
GLOBAL_OFFSET_B vgprGlobalReadOffsetB+2, 53,  7, 37 // gROB_0_0_2_0
GLOBAL_OFFSET_B vgprGlobalReadOffsetB+3, 53,  8, 37 // gROB_0_0_3_0
GLOBAL_OFFSET_B vgprGlobalReadOffsetB+4, 53,  9, 37 // gROB_0_0_4_0
GLOBAL_OFFSET_B vgprGlobalReadOffsetB+5, 53, 10, 37 // gROB_0_0_5_0
GLOBAL_OFFSET_B vgprGlobalReadOffsetB+6, 53, 11, 37 // gROB_0_0_6_0
GLOBAL_OFFSET_B vgprGlobalReadOffsetB+7, 53, 12, 37 // gROB_0_0_7_0
GLOBAL_OFFSET_B vgprGlobalReadOffsetB+8, 53, 13, 37 // gROB_0_0_8_0
GLOBAL_OFFSET_B vgprGlobalReadOffsetB+9, 53, 14, 37 // gROB_0_0_9_0
GLOBAL_OFFSET_B vgprGlobalReadOffsetB+10, 53, 15, 37 // gROB_0_0_10_0
GLOBAL_OFFSET_B vgprGlobalReadOffsetB+11, 53, 16, 37 // gROB_0_0_11_0
GLOBAL_OFFSET_B vgprGlobalReadOffsetB+12, 53, 17, 37 // gROB_0_0_12_0
GLOBAL_OFFSET_B vgprGlobalReadOffsetB+13, 53, 18, 37 // gROB_0_0_13_0
GLOBAL_OFFSET_B vgprGlobalReadOffsetB+14, 53, 19, 37 // gROB_0_0_14_0
GLOBAL_OFFSET_B vgprGlobalReadOffsetB+15, 53, 20, 37 // gROB_0_0_15_0
GLOBAL_OFFSET_B vgprGlobalReadOffsetB+16, 53, 21, 37 // gROB_0_0_16_0
GLOBAL_OFFSET_B vgprGlobalReadOffsetB+17, 53, 22, 37 // gROB_0_0_17_0
GLOBAL_OFFSET_B vgprGlobalReadOffsetB+18, 53, 23, 37 // gROB_0_0_18_0
GLOBAL_OFFSET_B vgprGlobalReadOffsetB+19, 53, 24, 37 // gROB_0_0_19_0
GLOBAL_OFFSET_B vgprGlobalReadOffsetB+20, 53, 25, 37 // gROB_0_0_20_0
GLOBAL_OFFSET_B vgprGlobalReadOffsetB+21, 53, 26, 37 // gROB_0_0_21_0
GLOBAL_OFFSET_B vgprGlobalReadOffsetB+22, 53, 27, 37 // gROB_0_0_22_0
GLOBAL_OFFSET_B vgprGlobalReadOffsetB+23, 53, 28, 37 // gROB_0_0_23_0
GLOBAL_OFFSET_B vgprGlobalReadOffsetB+24, 53, 29, 37 // gROB_0_0_24_0
GLOBAL_OFFSET_B vgprGlobalReadOffsetB+25, 53, 30, 37 // gROB_0_0_25_0
GLOBAL_OFFSET_B vgprGlobalReadOffsetB+26, 53, 31, 37 // gROB_0_0_26_0
GLOBAL_OFFSET_B vgprGlobalReadOffsetB+27, 53, 32, 37 // gROB_0_0_27_0
GLOBAL_OFFSET_B vgprGlobalReadOffsetB+28, 53, 33, 37 // gROB_0_0_28_0
GLOBAL_OFFSET_B vgprGlobalReadOffsetB+29, 53, 34, 37 // gROB_0_0_29_0
GLOBAL_OFFSET_B vgprGlobalReadOffsetB+30, 53, 35, 37 // gROB_0_0_30_0
GLOBAL_OFFSET_B vgprGlobalReadOffsetB+31, 53, 36, 37 // gROB_0_0_31_0


/* global read addresses: addresses a */

/* max read offset = size[n] * stride[n-1] */
s_mul_hi_u32 s59, s[sgprWorkGroup0], 256           // WorkGroup[01] * MT
s_mul_i32 s58, s[sgprWorkGroup0], 256              // WorkGroup[01] * MT
s_sub_u32 s[sgprShadowLimitA+0], s[sgprTensor2dSizeA], s58 // sub tileStart
s_subb_u32 s[sgprShadowLimitA+1], s[sgprTensor2dSizeA+1], s59 // sub tileStart
s_lshl_b64 s[sgprShadowLimitA:sgprShadowLimitA+1], s[sgprShadowLimitA:sgprShadowLimitA+1], 0x1 // Set limit to use bytes
s_add_u32 s[sgprShadowLimitA+0], s[sgprShadowLimitA+0], 8 // extend limit for pre-pad
s_addc_u32 s[sgprShadowLimitA+1], s[sgprShadowLimitA+1], 0 // extend limit for pre-pad
s_cmp_eq_u32 s[sgprShadowLimitA+1], 0              // are we within 2^32?
s_cselect_b32 s[sgprSrdA+2], s[sgprShadowLimitA+0], BufferLimitA // Move shadow to real if we are within 2^32
s_mul_hi_u32 s35, s[sgprStrideAK], s[sgprWorkGroup2] // Stride*WG
s_mul_i32 s34, s[sgprStrideAK], s[sgprWorkGroup2]  // Stride*WG
s_add_u32 s58, s58, s34                            // accum wg term to tilestart
s_addc_u32 s59, s59, s35                           // accum wg term to tilestart
s_lshl_b64 s[58:59], s[58:59], 0x1                 // tileStart *= BPE
s_add_u32 s[sgprSrdA+0], s[sgprSrdA+0], s58        // SRD base = Address+ tileStart0
s_addc_u32 s[sgprSrdA+1], s[sgprSrdA+1], s59       // SRD base = Address+ tileStart1
s_mov_b32 s[sgprSrdA+3], Srd127_96                 // Set bits 127_96 in SRD


/* global read addresses: addresses b */

/* max read offset = size[n] * stride[n-1] */
s_mul_hi_u32 s59, s[sgprWorkGroup1], 256           // WorkGroup[01] * MT
s_mul_i32 s58, s[sgprWorkGroup1], 256              // WorkGroup[01] * MT
s_mul_hi_u32 s59, s58, s[sgprStrideB1J]            // tlu=0, scaled tile-offset by stride
s_mul_i32 s58, s58, s[sgprStrideB1J]               // tlu=0, scaled tile-offset by stride
s_sub_u32 s[sgprShadowLimitB+0], s[sgprTensor2dSizeB], s58 // sub tileStart
s_subb_u32 s[sgprShadowLimitB+1], s[sgprTensor2dSizeB+1], s59 // sub tileStart
s_lshl_b64 s[sgprShadowLimitB:sgprShadowLimitB+1], s[sgprShadowLimitB:sgprShadowLimitB+1], 0x1 // Set limit to use bytes
s_add_u32 s[sgprShadowLimitB+0], s[sgprShadowLimitB+0], 4 // extend limit for pre-pad
s_addc_u32 s[sgprShadowLimitB+1], s[sgprShadowLimitB+1], 0 // extend limit for pre-pad
s_cmp_eq_u32 s[sgprShadowLimitB+1], 0              // are we within 2^32?
s_cselect_b32 s[sgprSrdB+2], s[sgprShadowLimitB+0], BufferLimitB // Move shadow to real if we are within 2^32
s_mul_hi_u32 s35, s[sgprStrideBK], s[sgprWorkGroup2] // Stride*WG
s_mul_i32 s34, s[sgprStrideBK], s[sgprWorkGroup2]  // Stride*WG
s_add_u32 s58, s58, s34                            // accum wg term to tilestart
s_addc_u32 s59, s59, s35                           // accum wg term to tilestart
s_lshl_b64 s[58:59], s[58:59], 0x1                 // tileStart *= BPE
s_add_u32 s[sgprSrdB+0], s[sgprSrdB+0], s58        // SRD base = Address+ tileStart0
s_addc_u32 s[sgprSrdB+1], s[sgprSrdB+1], s59       // SRD base = Address+ tileStart1
s_mov_b32 s[sgprSrdB+3], Srd127_96                 // Set bits 127_96 in SRD


/* global read addresses: increments a */

s_mul_i32 s[sgprGlobalReadIncsA+0], DepthU*BpeA, s[sgprStrideAL] // incrA unrollIdx)


/* global read addresses: increments b */

s_mov_b32 s[sgprGlobalReadIncsB+0], DepthU*BpeB    // incrB (unrollIdx)

/* declare loop num iterations */


s_lshr_b32 s[sgprLoopCounterL], s[sgprSizesSum+0], 6 // s[sgprLoopCounterL] = s[sgprSizesSum+0] / 64
s_mov_b32 s[sgprOrigLoopCounter], s[sgprLoopCounterL] // copy loop counter

/* local read addresses: init pointers a */


/* local read addresses: init pointers b */


/* localReadInitPointers */


/* prefetch: global -> local */

s_cmp_eq_u32 s[sgprLoopCounterL], 0                // at last iteration?
s_setprio 0                                        // optimization store
s_cbranch_scc1 ShadowInitStart_10                  // skip to ShadowInitStart iter b/c numIter==0


_buffer_load_b32 v[vgprG2LB+0], v[vgprGlobalReadOffsetB+0], s[sgprSrdB:sgprSrdB+3], 0, offen offset:0 // G -> Reg 0_0_0_0
_buffer_load_b32 v[vgprG2LB+1], v[vgprGlobalReadOffsetB+1], s[sgprSrdB:sgprSrdB+3], 0, offen offset:0 // G -> Reg 0_0_1_0
_buffer_load_b32 v[vgprG2LB+2], v[vgprGlobalReadOffsetB+2], s[sgprSrdB:sgprSrdB+3], 0, offen offset:0 // G -> Reg 0_0_2_0
_buffer_load_b32 v[vgprG2LB+3], v[vgprGlobalReadOffsetB+3], s[sgprSrdB:sgprSrdB+3], 0, offen offset:0 // G -> Reg 0_0_3_0
_buffer_load_b32 v[vgprG2LB+4], v[vgprGlobalReadOffsetB+4], s[sgprSrdB:sgprSrdB+3], 0, offen offset:0 // G -> Reg 0_0_4_0
_buffer_load_b32 v[vgprG2LB+5], v[vgprGlobalReadOffsetB+5], s[sgprSrdB:sgprSrdB+3], 0, offen offset:0 // G -> Reg 0_0_5_0
_buffer_load_b32 v[vgprG2LB+6], v[vgprGlobalReadOffsetB+6], s[sgprSrdB:sgprSrdB+3], 0, offen offset:0 // G -> Reg 0_0_6_0
_buffer_load_b32 v[vgprG2LB+7], v[vgprGlobalReadOffsetB+7], s[sgprSrdB:sgprSrdB+3], 0, offen offset:0 // G -> Reg 0_0_7_0
_buffer_load_b32 v[vgprG2LB+8], v[vgprGlobalReadOffsetB+8], s[sgprSrdB:sgprSrdB+3], 0, offen offset:0 // G -> Reg 0_0_8_0
_buffer_load_b32 v[vgprG2LB+9], v[vgprGlobalReadOffsetB+9], s[sgprSrdB:sgprSrdB+3], 0, offen offset:0 // G -> Reg 0_0_9_0
_buffer_load_b32 v[vgprG2LB+10], v[vgprGlobalReadOffsetB+10], s[sgprSrdB:sgprSrdB+3], 0, offen offset:0 // G -> Reg 0_0_10_0
_buffer_load_b32 v[vgprG2LB+11], v[vgprGlobalReadOffsetB+11], s[sgprSrdB:sgprSrdB+3], 0, offen offset:0 // G -> Reg 0_0_11_0
_buffer_load_b32 v[vgprG2LB+12], v[vgprGlobalReadOffsetB+12], s[sgprSrdB:sgprSrdB+3], 0, offen offset:0 // G -> Reg 0_0_12_0
_buffer_load_b32 v[vgprG2LB+13], v[vgprGlobalReadOffsetB+13], s[sgprSrdB:sgprSrdB+3], 0, offen offset:0 // G -> Reg 0_0_13_0
_buffer_load_b32 v[vgprG2LB+14], v[vgprGlobalReadOffsetB+14], s[sgprSrdB:sgprSrdB+3], 0, offen offset:0 // G -> Reg 0_0_14_0
_buffer_load_b32 v[vgprG2LB+15], v[vgprGlobalReadOffsetB+15], s[sgprSrdB:sgprSrdB+3], 0, offen offset:0 // G -> Reg 0_0_15_0
_buffer_load_b32 v[vgprG2LB+16], v[vgprGlobalReadOffsetB+16], s[sgprSrdB:sgprSrdB+3], 0, offen offset:0 // G -> Reg 0_0_16_0
_buffer_load_b32 v[vgprG2LB+17], v[vgprGlobalReadOffsetB+17], s[sgprSrdB:sgprSrdB+3], 0, offen offset:0 // G -> Reg 0_0_17_0
_buffer_load_b32 v[vgprG2LB+18], v[vgprGlobalReadOffsetB+18], s[sgprSrdB:sgprSrdB+3], 0, offen offset:0 // G -> Reg 0_0_18_0
_buffer_load_b32 v[vgprG2LB+19], v[vgprGlobalReadOffsetB+19], s[sgprSrdB:sgprSrdB+3], 0, offen offset:0 // G -> Reg 0_0_19_0
_buffer_load_b32 v[vgprG2LB+20], v[vgprGlobalReadOffsetB+20], s[sgprSrdB:sgprSrdB+3], 0, offen offset:0 // G -> Reg 0_0_20_0
_buffer_load_b32 v[vgprG2LB+21], v[vgprGlobalReadOffsetB+21], s[sgprSrdB:sgprSrdB+3], 0, offen offset:0 // G -> Reg 0_0_21_0
_buffer_load_b32 v[vgprG2LB+22], v[vgprGlobalReadOffsetB+22], s[sgprSrdB:sgprSrdB+3], 0, offen offset:0 // G -> Reg 0_0_22_0
_buffer_load_b32 v[vgprG2LB+23], v[vgprGlobalReadOffsetB+23], s[sgprSrdB:sgprSrdB+3], 0, offen offset:0 // G -> Reg 0_0_23_0
_buffer_load_b32 v[vgprG2LB+24], v[vgprGlobalReadOffsetB+24], s[sgprSrdB:sgprSrdB+3], 0, offen offset:0 // G -> Reg 0_0_24_0
_buffer_load_b32 v[vgprG2LB+25], v[vgprGlobalReadOffsetB+25], s[sgprSrdB:sgprSrdB+3], 0, offen offset:0 // G -> Reg 0_0_25_0
_buffer_load_b32 v[vgprG2LB+26], v[vgprGlobalReadOffsetB+26], s[sgprSrdB:sgprSrdB+3], 0, offen offset:0 // G -> Reg 0_0_26_0
_buffer_load_b32 v[vgprG2LB+27], v[vgprGlobalReadOffsetB+27], s[sgprSrdB:sgprSrdB+3], 0, offen offset:0 // G -> Reg 0_0_27_0
_buffer_load_b32 v[vgprG2LB+28], v[vgprGlobalReadOffsetB+28], s[sgprSrdB:sgprSrdB+3], 0, offen offset:0 // G -> Reg 0_0_28_0
_buffer_load_b32 v[vgprG2LB+29], v[vgprGlobalReadOffsetB+29], s[sgprSrdB:sgprSrdB+3], 0, offen offset:0 // G -> Reg 0_0_29_0
_buffer_load_b32 v[vgprG2LB+30], v[vgprGlobalReadOffsetB+30], s[sgprSrdB:sgprSrdB+3], 0, offen offset:0 // G -> Reg 0_0_30_0
_buffer_load_b32 v[vgprG2LB+31], v[vgprGlobalReadOffsetB+31], s[sgprSrdB:sgprSrdB+3], 0, offen offset:0 // G -> Reg 0_0_31_0


_buffer_load_b64 v[vgprG2LA0+0:vgprG2LA0+0+1], v[vgprGlobalReadOffsetA+0], s[sgprSrdA:sgprSrdA+3], 0, offen offset:0 // G -> Reg 0_0_0_0
_buffer_load_b64 v[vgprG2LA0+2:vgprG2LA0+2+1], v[vgprGlobalReadOffsetA+1], s[sgprSrdA:sgprSrdA+3], 0, offen offset:0 // G -> Reg 0_0_1_0
_buffer_load_b64 v[vgprG2LA0+4:vgprG2LA0+4+1], v[vgprGlobalReadOffsetA+2], s[sgprSrdA:sgprSrdA+3], 0, offen offset:0 // G -> Reg 0_0_2_0
_buffer_load_b64 v[vgprG2LA0+6:vgprG2LA0+6+1], v[vgprGlobalReadOffsetA+3], s[sgprSrdA:sgprSrdA+3], 0, offen offset:0 // G -> Reg 0_0_3_0
_buffer_load_b64 v[vgprG2LA0+8:vgprG2LA0+8+1], v[vgprGlobalReadOffsetA+4], s[sgprSrdA:sgprSrdA+3], 0, offen offset:0 // G -> Reg 0_0_4_0
_buffer_load_b64 v[vgprG2LA0+10:vgprG2LA0+10+1], v[vgprGlobalReadOffsetA+5], s[sgprSrdA:sgprSrdA+3], 0, offen offset:0 // G -> Reg 0_0_5_0
_buffer_load_b64 v[vgprG2LA0+12:vgprG2LA0+12+1], v[vgprGlobalReadOffsetA+6], s[sgprSrdA:sgprSrdA+3], 0, offen offset:0 // G -> Reg 0_0_6_0
_buffer_load_b64 v[vgprG2LA0+14:vgprG2LA0+14+1], v[vgprGlobalReadOffsetA+7], s[sgprSrdA:sgprSrdA+3], 0, offen offset:0 // G -> Reg 0_0_7_0
_buffer_load_b64 v[vgprG2LA0+16:vgprG2LA0+16+1], v[vgprGlobalReadOffsetA+8], s[sgprSrdA:sgprSrdA+3], 0, offen offset:0 // G -> Reg 0_0_8_0
_buffer_load_b64 v[vgprG2LA0+18:vgprG2LA0+18+1], v[vgprGlobalReadOffsetA+9], s[sgprSrdA:sgprSrdA+3], 0, offen offset:0 // G -> Reg 0_0_9_0
_buffer_load_b64 v[vgprG2LA0+20:vgprG2LA0+20+1], v[vgprGlobalReadOffsetA+10], s[sgprSrdA:sgprSrdA+3], 0, offen offset:0 // G -> Reg 0_0_10_0
_buffer_load_b64 v[vgprG2LA0+22:vgprG2LA0+22+1], v[vgprGlobalReadOffsetA+11], s[sgprSrdA:sgprSrdA+3], 0, offen offset:0 // G -> Reg 0_0_11_0
_buffer_load_b64 v[vgprG2LA0+24:vgprG2LA0+24+1], v[vgprGlobalReadOffsetA+12], s[sgprSrdA:sgprSrdA+3], 0, offen offset:0 // G -> Reg 0_0_12_0
_buffer_load_b64 v[vgprG2LA0+26:vgprG2LA0+26+1], v[vgprGlobalReadOffsetA+13], s[sgprSrdA:sgprSrdA+3], 0, offen offset:0 // G -> Reg 0_0_13_0
_buffer_load_b64 v[vgprG2LA0+28:vgprG2LA0+28+1], v[vgprGlobalReadOffsetA+14], s[sgprSrdA:sgprSrdA+3], 0, offen offset:0 // G -> Reg 0_0_14_0
_buffer_load_b64 v[vgprG2LA0+30:vgprG2LA0+30+1], v[vgprGlobalReadOffsetA+15], s[sgprSrdA:sgprSrdA+3], 0, offen offset:0 // G -> Reg 0_0_15_0


/* global read inc A loopL */
s_add_u32 s[sgprSrdA+0], s[sgprSrdA+0], s[sgprGlobalReadIncsA+0] // gra SRD += inc(lower)
s_addc_u32  s[sgprSrdA+1], s[sgprSrdA+1], 0        // gra SRD += inc(upper)
s_sub_u32 s[sgprShadowLimitA+0], s[sgprShadowLimitA+0], s[sgprGlobalReadIncsA+0] // limit -= inc)
s_subb_u32 s[sgprShadowLimitA+1], s[sgprShadowLimitA+1], 0 // limit -= inc)
s_cmp_eq_u32 s[sgprShadowLimitA+1], 0              // are we within 2^32?
s_cmov_b32 s[sgprSrdA+2], s[sgprShadowLimitA+0]    // Move shadow to real if we are within 2^32

/* global read inc B loopL */
s_add_u32 s[sgprSrdB+0], s[sgprSrdB+0], s[sgprGlobalReadIncsB+0] // gra SRD += inc(lower)
s_addc_u32  s[sgprSrdB+1], s[sgprSrdB+1], 0        // gra SRD += inc(upper)
s_sub_u32 s[sgprShadowLimitB+0], s[sgprShadowLimitB+0], s[sgprGlobalReadIncsB+0] // limit -= inc)
s_subb_u32 s[sgprShadowLimitB+1], s[sgprShadowLimitB+1], 0 // limit -= inc)
s_cmp_eq_u32 s[sgprShadowLimitB+1], 0              // are we within 2^32?
s_cmov_b32 s[sgprSrdB+2], s[sgprShadowLimitB+0]    // Move shadow to real if we are within 2^32


/******************************************/
/* End setupNewTile, isPap=False             */
/******************************************/

ShadowInitStart_10: // 

s_mov_b32 s[sgprSrdD+2], BufferOOB                 // 
s_mov_b32 s[sgprSrdD+3], Srd127_96                 // Set bits 127_96 in post-loop SRD

s_mov_b32 s[sgprSrdC+2], BufferOOB                 // 
s_mov_b32 s[sgprSrdC+3], Srd127_96                 // Set bits 127_96 in post-loop SRD


s_mul_i32 s58, MT1, s[sgprWorkGroup1]              // <- wg1*MT1
s_mul_hi_u32 s57, s58, s[sgprStrideC1J]            // CScale s58 by Stride
s_mul_i32 s56, s58, s[sgprStrideC1J]               // CScale s58 by Stride
s_lshl_b64 s[56:57], s[56:57], 1                   // scale by bpe
s_add_u32 s[sgprSrdC+0], s[sgprSrdC+0], s56        // add lo to SRD
s_addc_u32 s[sgprSrdC+1], s[sgprSrdC+1], s57       // add hi to SRD
s_mul_hi_u32 s57, s58, s[sgprStrideD1J]            // Scale s58 by Stride
s_mul_i32 s56, s58, s[sgprStrideD1J]               // Scale s58 by Stride
s_lshl_b64 s[56:57], s[56:57], 1                   // scale by bpe
s_add_u32 s[sgprSrdD+0], s[sgprSrdD+0], s56        // add lo to SRD
s_addc_u32 s[sgprSrdD+1], s[sgprSrdD+1], s57       // add hi to SRD

s_mul_hi_u32 s57, s[sgprWorkGroup2], s[sgprStrideCK] // CScale s[sgprWorkGroup2] by Stride
s_mul_i32 s56, s[sgprWorkGroup2], s[sgprStrideCK]  // CScale s[sgprWorkGroup2] by Stride
s_lshl_b64 s[56:57], s[56:57], 1                   // scale by bpe
s_add_u32 s[sgprSrdC+0], s[sgprSrdC+0], s56        // add lo to SRD
s_addc_u32 s[sgprSrdC+1], s[sgprSrdC+1], s57       // add hi to SRD
s_mul_hi_u32 s57, s[sgprWorkGroup2], s[sgprStrideDK] // Scale s[sgprWorkGroup2] by Stride
s_mul_i32 s56, s[sgprWorkGroup2], s[sgprStrideDK]  // Scale s[sgprWorkGroup2] by Stride
s_lshl_b64 s[56:57], s[56:57], 1                   // scale by bpe
s_add_u32 s[sgprSrdD+0], s[sgprSrdD+0], s56        // add lo to SRD
s_addc_u32 s[sgprSrdD+1], s[sgprSrdD+1], s57       // add hi to SRD


	;; [unrolled: 1-line block ×3, first 2 shown]
/* initC: remove C-tile 0-0 from pool */

/* initC: remove AB-tile 0-136 from pool */
v_accvgpr_write acc0, 0x0                          // initC
v_accvgpr_write acc1, 0x0                          // initC
v_accvgpr_write acc2, 0x0                          // initC
v_accvgpr_write acc3, 0x0                          // initC
v_accvgpr_write acc4, 0x0                          // initC
v_accvgpr_write acc5, 0x0                          // initC
v_accvgpr_write acc6, 0x0                          // initC
v_accvgpr_write acc7, 0x0                          // initC
v_accvgpr_write acc8, 0x0                          // initC
v_accvgpr_write acc9, 0x0                          // initC
v_accvgpr_write acc10, 0x0                         // initC
v_accvgpr_write acc11, 0x0                         // initC
v_accvgpr_write acc12, 0x0                         // initC
v_accvgpr_write acc13, 0x0                         // initC
v_accvgpr_write acc14, 0x0                         // initC
v_accvgpr_write acc15, 0x0                         // initC
v_accvgpr_write acc16, 0x0                         // initC
v_accvgpr_write acc17, 0x0                         // initC
v_accvgpr_write acc18, 0x0                         // initC
v_accvgpr_write acc19, 0x0                         // initC
v_accvgpr_write acc20, 0x0                         // initC
v_accvgpr_write acc21, 0x0                         // initC
v_accvgpr_write acc22, 0x0                         // initC
v_accvgpr_write acc23, 0x0                         // initC
v_accvgpr_write acc24, 0x0                         // initC
v_accvgpr_write acc25, 0x0                         // initC
v_accvgpr_write acc26, 0x0                         // initC
v_accvgpr_write acc27, 0x0                         // initC
v_accvgpr_write acc28, 0x0                         // initC
v_accvgpr_write acc29, 0x0                         // initC
v_accvgpr_write acc30, 0x0                         // initC
v_accvgpr_write acc31, 0x0                         // initC
v_accvgpr_write acc32, 0x0                         // initC
v_accvgpr_write acc33, 0x0                         // initC
v_accvgpr_write acc34, 0x0                         // initC
v_accvgpr_write acc35, 0x0                         // initC
v_accvgpr_write acc36, 0x0                         // initC
v_accvgpr_write acc37, 0x0                         // initC
v_accvgpr_write acc38, 0x0                         // initC
v_accvgpr_write acc39, 0x0                         // initC
v_accvgpr_write acc40, 0x0                         // initC
v_accvgpr_write acc41, 0x0                         // initC
v_accvgpr_write acc42, 0x0                         // initC
v_accvgpr_write acc43, 0x0                         // initC
v_accvgpr_write acc44, 0x0                         // initC
v_accvgpr_write acc45, 0x0                         // initC
v_accvgpr_write acc46, 0x0                         // initC
v_accvgpr_write acc47, 0x0                         // initC
v_accvgpr_write acc48, 0x0                         // initC
v_accvgpr_write acc49, 0x0                         // initC
v_accvgpr_write acc50, 0x0                         // initC
v_accvgpr_write acc51, 0x0                         // initC
v_accvgpr_write acc52, 0x0                         // initC
v_accvgpr_write acc53, 0x0                         // initC
v_accvgpr_write acc54, 0x0                         // initC
v_accvgpr_write acc55, 0x0                         // initC
v_accvgpr_write acc56, 0x0                         // initC
v_accvgpr_write acc57, 0x0                         // initC
v_accvgpr_write acc58, 0x0                         // initC
v_accvgpr_write acc59, 0x0                         // initC
v_accvgpr_write acc60, 0x0                         // initC
v_accvgpr_write acc61, 0x0                         // initC
v_accvgpr_write acc62, 0x0                         // initC
v_accvgpr_write acc63, 0x0                         // initC
v_accvgpr_write acc64, 0x0                         // initC
v_accvgpr_write acc65, 0x0                         // initC
v_accvgpr_write acc66, 0x0                         // initC
v_accvgpr_write acc67, 0x0                         // initC
v_accvgpr_write acc68, 0x0                         // initC
v_accvgpr_write acc69, 0x0                         // initC
v_accvgpr_write acc70, 0x0                         // initC
v_accvgpr_write acc71, 0x0                         // initC
v_accvgpr_write acc72, 0x0                         // initC
v_accvgpr_write acc73, 0x0                         // initC
v_accvgpr_write acc74, 0x0                         // initC
v_accvgpr_write acc75, 0x0                         // initC
v_accvgpr_write acc76, 0x0                         // initC
v_accvgpr_write acc77, 0x0                         // initC
v_accvgpr_write acc78, 0x0                         // initC
v_accvgpr_write acc79, 0x0                         // initC
v_accvgpr_write acc80, 0x0                         // initC
v_accvgpr_write acc81, 0x0                         // initC
v_accvgpr_write acc82, 0x0                         // initC
v_accvgpr_write acc83, 0x0                         // initC
v_accvgpr_write acc84, 0x0                         // initC
v_accvgpr_write acc85, 0x0                         // initC
v_accvgpr_write acc86, 0x0                         // initC
v_accvgpr_write acc87, 0x0                         // initC
v_accvgpr_write acc88, 0x0                         // initC
v_accvgpr_write acc89, 0x0                         // initC
v_accvgpr_write acc90, 0x0                         // initC
v_accvgpr_write acc91, 0x0                         // initC
v_accvgpr_write acc92, 0x0                         // initC
v_accvgpr_write acc93, 0x0                         // initC
v_accvgpr_write acc94, 0x0                         // initC
v_accvgpr_write acc95, 0x0                         // initC
v_accvgpr_write acc96, 0x0                         // initC
v_accvgpr_write acc97, 0x0                         // initC
v_accvgpr_write acc98, 0x0                         // initC
v_accvgpr_write acc99, 0x0                         // initC
v_accvgpr_write acc100, 0x0                        // initC
v_accvgpr_write acc101, 0x0                        // initC
v_accvgpr_write acc102, 0x0                        // initC
v_accvgpr_write acc103, 0x0                        // initC
v_accvgpr_write acc104, 0x0                        // initC
v_accvgpr_write acc105, 0x0                        // initC
v_accvgpr_write acc106, 0x0                        // initC
v_accvgpr_write acc107, 0x0                        // initC
v_accvgpr_write acc108, 0x0                        // initC
v_accvgpr_write acc109, 0x0                        // initC
v_accvgpr_write acc110, 0x0                        // initC
v_accvgpr_write acc111, 0x0                        // initC
v_accvgpr_write acc112, 0x0                        // initC
v_accvgpr_write acc113, 0x0                        // initC
v_accvgpr_write acc114, 0x0                        // initC
v_accvgpr_write acc115, 0x0                        // initC
v_accvgpr_write acc116, 0x0                        // initC
v_accvgpr_write acc117, 0x0                        // initC
v_accvgpr_write acc118, 0x0                        // initC
v_accvgpr_write acc119, 0x0                        // initC
v_accvgpr_write acc120, 0x0                        // initC
v_accvgpr_write acc121, 0x0                        // initC
v_accvgpr_write acc122, 0x0                        // initC
v_accvgpr_write acc123, 0x0                        // initC
v_accvgpr_write acc124, 0x0                        // initC
v_accvgpr_write acc125, 0x0                        // initC
v_accvgpr_write acc126, 0x0                        // initC
v_accvgpr_write acc127, 0x0                        // initC
v_accvgpr_write acc128, 0x0                        // initC
v_accvgpr_write acc129, 0x0                        // initC
v_accvgpr_write acc130, 0x0                        // initC
v_accvgpr_write acc131, 0x0                        // initC
v_accvgpr_write acc132, 0x0                        // initC
v_accvgpr_write acc133, 0x0                        // initC
v_accvgpr_write acc134, 0x0                        // initC
v_accvgpr_write acc135, 0x0                        // initC
v_accvgpr_write acc136, 0x0                        // initC
v_accvgpr_write acc137, 0x0                        // initC
v_accvgpr_write acc138, 0x0                        // initC
v_accvgpr_write acc139, 0x0                        // initC
v_accvgpr_write acc140, 0x0                        // initC
v_accvgpr_write acc141, 0x0                        // initC
v_accvgpr_write acc142, 0x0                        // initC
v_accvgpr_write acc143, 0x0                        // initC
v_accvgpr_write acc144, 0x0                        // initC
v_accvgpr_write acc145, 0x0                        // initC
v_accvgpr_write acc146, 0x0                        // initC
v_accvgpr_write acc147, 0x0                        // initC
v_accvgpr_write acc148, 0x0                        // initC
v_accvgpr_write acc149, 0x0                        // initC
v_accvgpr_write acc150, 0x0                        // initC
v_accvgpr_write acc151, 0x0                        // initC
v_accvgpr_write acc152, 0x0                        // initC
v_accvgpr_write acc153, 0x0                        // initC
v_accvgpr_write acc154, 0x0                        // initC
v_accvgpr_write acc155, 0x0                        // initC
v_accvgpr_write acc156, 0x0                        // initC
v_accvgpr_write acc157, 0x0                        // initC
v_accvgpr_write acc158, 0x0                        // initC
v_accvgpr_write acc159, 0x0                        // initC
v_accvgpr_write acc160, 0x0                        // initC
v_accvgpr_write acc161, 0x0                        // initC
v_accvgpr_write acc162, 0x0                        // initC
v_accvgpr_write acc163, 0x0                        // initC
v_accvgpr_write acc164, 0x0                        // initC
v_accvgpr_write acc165, 0x0                        // initC
v_accvgpr_write acc166, 0x0                        // initC
v_accvgpr_write acc167, 0x0                        // initC
v_accvgpr_write acc168, 0x0                        // initC
v_accvgpr_write acc169, 0x0                        // initC
v_accvgpr_write acc170, 0x0                        // initC
v_accvgpr_write acc171, 0x0                        // initC
v_accvgpr_write acc172, 0x0                        // initC
v_accvgpr_write acc173, 0x0                        // initC
v_accvgpr_write acc174, 0x0                        // initC
v_accvgpr_write acc175, 0x0                        // initC
v_accvgpr_write acc176, 0x0                        // initC
v_accvgpr_write acc177, 0x0                        // initC
v_accvgpr_write acc178, 0x0                        // initC
v_accvgpr_write acc179, 0x0                        // initC
v_accvgpr_write acc180, 0x0                        // initC
v_accvgpr_write acc181, 0x0                        // initC
v_accvgpr_write acc182, 0x0                        // initC
v_accvgpr_write acc183, 0x0                        // initC
v_accvgpr_write acc184, 0x0                        // initC
v_accvgpr_write acc185, 0x0                        // initC
v_accvgpr_write acc186, 0x0                        // initC
v_accvgpr_write acc187, 0x0                        // initC
v_accvgpr_write acc188, 0x0                        // initC
v_accvgpr_write acc189, 0x0                        // initC
v_accvgpr_write acc190, 0x0                        // initC
v_accvgpr_write acc191, 0x0                        // initC
v_accvgpr_write acc192, 0x0                        // initC
v_accvgpr_write acc193, 0x0                        // initC
v_accvgpr_write acc194, 0x0                        // initC
v_accvgpr_write acc195, 0x0                        // initC
v_accvgpr_write acc196, 0x0                        // initC
v_accvgpr_write acc197, 0x0                        // initC
v_accvgpr_write acc198, 0x0                        // initC
v_accvgpr_write acc199, 0x0                        // initC
v_accvgpr_write acc200, 0x0                        // initC
v_accvgpr_write acc201, 0x0                        // initC
v_accvgpr_write acc202, 0x0                        // initC
v_accvgpr_write acc203, 0x0                        // initC
v_accvgpr_write acc204, 0x0                        // initC
v_accvgpr_write acc205, 0x0                        // initC
v_accvgpr_write acc206, 0x0                        // initC
v_accvgpr_write acc207, 0x0                        // initC
v_accvgpr_write acc208, 0x0                        // initC
v_accvgpr_write acc209, 0x0                        // initC
v_accvgpr_write acc210, 0x0                        // initC
v_accvgpr_write acc211, 0x0                        // initC
v_accvgpr_write acc212, 0x0                        // initC
v_accvgpr_write acc213, 0x0                        // initC
v_accvgpr_write acc214, 0x0                        // initC
v_accvgpr_write acc215, 0x0                        // initC
v_accvgpr_write acc216, 0x0                        // initC
v_accvgpr_write acc217, 0x0                        // initC
v_accvgpr_write acc218, 0x0                        // initC
v_accvgpr_write acc219, 0x0                        // initC
v_accvgpr_write acc220, 0x0                        // initC
v_accvgpr_write acc221, 0x0                        // initC
v_accvgpr_write acc222, 0x0                        // initC
v_accvgpr_write acc223, 0x0                        // initC
v_accvgpr_write acc224, 0x0                        // initC
v_accvgpr_write acc225, 0x0                        // initC
v_accvgpr_write acc226, 0x0                        // initC
v_accvgpr_write acc227, 0x0                        // initC
v_accvgpr_write acc228, 0x0                        // initC
v_accvgpr_write acc229, 0x0                        // initC
v_accvgpr_write acc230, 0x0                        // initC
v_accvgpr_write acc231, 0x0                        // initC
v_accvgpr_write acc232, 0x0                        // initC
v_accvgpr_write acc233, 0x0                        // initC
v_accvgpr_write acc234, 0x0                        // initC
v_accvgpr_write acc235, 0x0                        // initC
v_accvgpr_write acc236, 0x0                        // initC
v_accvgpr_write acc237, 0x0                        // initC
v_accvgpr_write acc238, 0x0                        // initC
v_accvgpr_write acc239, 0x0                        // initC
v_accvgpr_write acc240, 0x0                        // initC
v_accvgpr_write acc241, 0x0                        // initC
v_accvgpr_write acc242, 0x0                        // initC
v_accvgpr_write acc243, 0x0                        // initC
v_accvgpr_write acc244, 0x0                        // initC
v_accvgpr_write acc245, 0x0                        // initC
v_accvgpr_write acc246, 0x0                        // initC
v_accvgpr_write acc247, 0x0                        // initC
v_accvgpr_write acc248, 0x0                        // initC
v_accvgpr_write acc249, 0x0                        // initC
v_accvgpr_write acc250, 0x0                        // initC
v_accvgpr_write acc251, 0x0                        // initC
v_accvgpr_write acc252, 0x0                        // initC
v_accvgpr_write acc253, 0x0                        // initC
v_accvgpr_write acc254, 0x0                        // initC
v_accvgpr_write acc255, 0x0                        // initC

s_cmp_eq_u32 s[sgprLoopCounterL], 0                // at last iteration?

/* after InitC, skip to end of prefetch last iter if numIter==0 */
s_cbranch_scc0 label_NoBranch_11                   // Only branch on scc1
s_getpc_B64 s[56:57]                               // addr of next instr
s_add_i32 s58, PrefetchGlobalLastIterEnd_5, 0x4    // target branch offset
s_add_u32 s56, s56, s58                            // add target branch offset
s_addc_u32 s57, s57, 0                             // add high and carry
s_setpc_b64 s[56:57]                               // branch to PrefetchGlobalLastIterEnd_5
label_NoBranch_11:

s_waitcnt vmcnt(16)                                // lgkmcnt=-1 vmcnt=16 8wait for global read


/* local write a */

/* local write b */
_ds_store_b32 v[vgprLocalWriteAddrB], v[vgprG2LB+0] offset:0 // lwoB_0_0_0_0 = (0*LSCB)*(MT1J+PAD) + (0*LSPB) = 0
_ds_store_b32 v[vgprLocalWriteAddrB], v[vgprG2LB+1] offset:1056 // lwoB_0_0_1_0 = (0*LSCB)*(MT1J+PAD) + (1*LSPB) = 1056
_ds_store_b32 v[vgprLocalWriteAddrB], v[vgprG2LB+2] offset:2112 // lwoB_0_0_2_0 = (0*LSCB)*(MT1J+PAD) + (2*LSPB) = 2112
_ds_store_b32 v[vgprLocalWriteAddrB], v[vgprG2LB+3] offset:3168 // lwoB_0_0_3_0 = (0*LSCB)*(MT1J+PAD) + (3*LSPB) = 3168
_ds_store_b32 v[vgprLocalWriteAddrB], v[vgprG2LB+4] offset:4224 // lwoB_0_0_4_0 = (0*LSCB)*(MT1J+PAD) + (4*LSPB) = 4224
_ds_store_b32 v[vgprLocalWriteAddrB], v[vgprG2LB+5] offset:5280 // lwoB_0_0_5_0 = (0*LSCB)*(MT1J+PAD) + (5*LSPB) = 5280
_ds_store_b32 v[vgprLocalWriteAddrB], v[vgprG2LB+6] offset:6336 // lwoB_0_0_6_0 = (0*LSCB)*(MT1J+PAD) + (6*LSPB) = 6336
_ds_store_b32 v[vgprLocalWriteAddrB], v[vgprG2LB+7] offset:7392 // lwoB_0_0_7_0 = (0*LSCB)*(MT1J+PAD) + (7*LSPB) = 7392
_ds_store_b32 v[vgprLocalWriteAddrB], v[vgprG2LB+8] offset:8448 // lwoB_0_0_8_0 = (0*LSCB)*(MT1J+PAD) + (8*LSPB) = 8448
_ds_store_b32 v[vgprLocalWriteAddrB], v[vgprG2LB+9] offset:9504 // lwoB_0_0_9_0 = (0*LSCB)*(MT1J+PAD) + (9*LSPB) = 9504
_ds_store_b32 v[vgprLocalWriteAddrB], v[vgprG2LB+10] offset:10560 // lwoB_0_0_10_0 = (0*LSCB)*(MT1J+PAD) + (10*LSPB) = 10560
_ds_store_b32 v[vgprLocalWriteAddrB], v[vgprG2LB+11] offset:11616 // lwoB_0_0_11_0 = (0*LSCB)*(MT1J+PAD) + (11*LSPB) = 11616
_ds_store_b32 v[vgprLocalWriteAddrB], v[vgprG2LB+12] offset:12672 // lwoB_0_0_12_0 = (0*LSCB)*(MT1J+PAD) + (12*LSPB) = 12672
_ds_store_b32 v[vgprLocalWriteAddrB], v[vgprG2LB+13] offset:13728 // lwoB_0_0_13_0 = (0*LSCB)*(MT1J+PAD) + (13*LSPB) = 13728
_ds_store_b32 v[vgprLocalWriteAddrB], v[vgprG2LB+14] offset:14784 // lwoB_0_0_14_0 = (0*LSCB)*(MT1J+PAD) + (14*LSPB) = 14784
_ds_store_b32 v[vgprLocalWriteAddrB], v[vgprG2LB+15] offset:15840 // lwoB_0_0_15_0 = (0*LSCB)*(MT1J+PAD) + (15*LSPB) = 15840
_ds_store_b32 v[vgprLocalWriteAddrB], v[vgprG2LB+16] offset:16896 // lwoB_0_0_16_0 = (0*LSCB)*(MT1J+PAD) + (16*LSPB) = 16896
_ds_store_b32 v[vgprLocalWriteAddrB], v[vgprG2LB+17] offset:17952 // lwoB_0_0_17_0 = (0*LSCB)*(MT1J+PAD) + (17*LSPB) = 17952
_ds_store_b32 v[vgprLocalWriteAddrB], v[vgprG2LB+18] offset:19008 // lwoB_0_0_18_0 = (0*LSCB)*(MT1J+PAD) + (18*LSPB) = 19008
_ds_store_b32 v[vgprLocalWriteAddrB], v[vgprG2LB+19] offset:20064 // lwoB_0_0_19_0 = (0*LSCB)*(MT1J+PAD) + (19*LSPB) = 20064
_ds_store_b32 v[vgprLocalWriteAddrB], v[vgprG2LB+20] offset:21120 // lwoB_0_0_20_0 = (0*LSCB)*(MT1J+PAD) + (20*LSPB) = 21120
_ds_store_b32 v[vgprLocalWriteAddrB], v[vgprG2LB+21] offset:22176 // lwoB_0_0_21_0 = (0*LSCB)*(MT1J+PAD) + (21*LSPB) = 22176
_ds_store_b32 v[vgprLocalWriteAddrB], v[vgprG2LB+22] offset:23232 // lwoB_0_0_22_0 = (0*LSCB)*(MT1J+PAD) + (22*LSPB) = 23232
_ds_store_b32 v[vgprLocalWriteAddrB], v[vgprG2LB+23] offset:24288 // lwoB_0_0_23_0 = (0*LSCB)*(MT1J+PAD) + (23*LSPB) = 24288
_ds_store_b32 v[vgprLocalWriteAddrB], v[vgprG2LB+24] offset:25344 // lwoB_0_0_24_0 = (0*LSCB)*(MT1J+PAD) + (24*LSPB) = 25344
_ds_store_b32 v[vgprLocalWriteAddrB], v[vgprG2LB+25] offset:26400 // lwoB_0_0_25_0 = (0*LSCB)*(MT1J+PAD) + (25*LSPB) = 26400
_ds_store_b32 v[vgprLocalWriteAddrB], v[vgprG2LB+26] offset:27456 // lwoB_0_0_26_0 = (0*LSCB)*(MT1J+PAD) + (26*LSPB) = 27456
_ds_store_b32 v[vgprLocalWriteAddrB], v[vgprG2LB+27] offset:28512 // lwoB_0_0_27_0 = (0*LSCB)*(MT1J+PAD) + (27*LSPB) = 28512
_ds_store_b32 v[vgprLocalWriteAddrB], v[vgprG2LB+28] offset:29568 // lwoB_0_0_28_0 = (0*LSCB)*(MT1J+PAD) + (28*LSPB) = 29568
_ds_store_b32 v[vgprLocalWriteAddrB], v[vgprG2LB+29] offset:30624 // lwoB_0_0_29_0 = (0*LSCB)*(MT1J+PAD) + (29*LSPB) = 30624
_ds_store_b32 v[vgprLocalWriteAddrB], v[vgprG2LB+30] offset:31680 // lwoB_0_0_30_0 = (0*LSCB)*(MT1J+PAD) + (30*LSPB) = 31680
_ds_store_b32 v[vgprLocalWriteAddrB], v[vgprG2LB+31] offset:32736 // lwoB_0_0_31_0 = (0*LSCB)*(MT1J+PAD) + (31*LSPB) = 32736


/* local write swap a */


	;; [unrolled: 1-line block ×3, first 2 shown]
/* local write swap b */


	;; [unrolled: 1-line block ×4, first 2 shown]
s_waitcnt lgkmcnt(0)                               // lgkmcnt=0 vmcnt=-10prefetch wait for local write

s_waitcnt lgkmcnt(0) & vmcnt(0)                    // force waitcnt0
s_barrier //


/* local read prefetch a */


	;; [unrolled: 1-line block ×3, first 2 shown]
/* local read prefetch b */

_ds_load_b64 v[vgprValuB_X0_I0+0:vgprValuB_X0_I0+0+1], v[vgprLocalReadAddrB] offset:0 // L -> Reg lro=0 swapByteOffset=0 ti=32 vIdx=0 rIdx=0 oIdx=0 buffer=0 iui=0
_ds_load_b64 v[vgprValuB_X0_I0+2:vgprValuB_X0_I0+2+1], v[vgprLocalReadAddrB] offset:128 // L -> Reg lro=0 swapByteOffset=0 ti=32 vIdx=0 rIdx=0 oIdx=0 buffer=0 iui=0
	;; [unrolled: 1-line block ×16, first 2 shown]


/* local read inc a */


	;; [unrolled: 1-line block ×3, first 2 shown]
/* local read inc b */

/* N/A, lro->16 */
/* self.localReadDoCntA 1 self.localReadDoCntB 1 */


	;; [unrolled: 1-line block ×3, first 2 shown]
/******************************************/
/* Unrolled Loop(s) - Begin               */
/******************************************/

openLoopL_12:
s_cmp_le_u32 s[sgprLoopCounterL], 0x1              // LoopCounterL < EndCounter
s_cbranch_scc1 LoopEndL_2                          // do not enter LoopL
LoopBeginL_1:


/******************************************/
/* Unrolled Loop 1/2 - Begin              */
/******************************************/

label_0013: // LoopCopy1 


/* Begin Each Unroll: Check VGPR.checkin for INT8 LW */


	;; [unrolled: 1-line block ×3, first 2 shown]
/* iter 0 */

s_waitcnt vmcnt(12)                                // lgkmcnt=-1 vmcnt=12global read wait for DirectToVgpr

/*  grEndMfmaIndex:184, lwStartMfmaIndex:197, lwEndMfmaIndex:228  */
/*  numMfmaForLR:21, barrierMfmaIndex:234 */
/*  mfmaIndex:0  */
_buffer_load_b32 v[vgprG2LB+0], v[vgprGlobalReadOffsetB+0], s[sgprSrdB:sgprSrdB+3], 0, offen offset:0 // G -> Reg 0_0_0_0
s_waitcnt lgkmcnt(0)                               // lgkmcnt=0 vmcnt=-1wait for prior local read local write old=0, new=0 newLW=0 newLR=0
/* pack scheduling: packAIdx:2, packBIdx:0 */
v_perm_b32 v[vgprValuA_X0_I0+0], v[vgprValuA_X0_I0_D1+0], v[vgprValuA_X0_I0_D0+0], s[sgprPackKForV0] // select K=01 for vector=0
v_perm_b32 v[vgprValuA_X0_I0+1], v[vgprValuA_X0_I0_D3+0], v[vgprValuA_X0_I0_D2+0], s[sgprPackKForV0] // select K=23 for vector=0
v_perm_b32 v[vgprValuA_X0_I0+2], v[vgprValuA_X0_I0_D1+0], v[vgprValuA_X0_I0_D0+0], s[sgprPackKForV1] // select K=01 for vector=1
v_perm_b32 v[vgprValuA_X0_I0+3], v[vgprValuA_X0_I0_D3+0], v[vgprValuA_X0_I0_D2+0], s[sgprPackKForV1] // select K=23 for vector=1
v_mfma_f32_16x16x16_bf16 a[0+0:3+0], v[vgprValuB_X0_I0+0+0+0:vgprValuB_X0_I0+0+0+0+1], v[vgprValuA_X0_I0+0+0+0:vgprValuA_X0_I0+0+0+0+1], a[0:3]
/*  mfmaIndex:1  */
_ds_load_b64 v[vgprValuB_X1_I0+0:vgprValuB_X1_I0+0+1], v[vgprLocalReadAddrB] offset:32 // L -> Reg lro=16 swapByteOffset=0 ti=32 vIdx=0 rIdx=0 oIdx=0 buffer=1 iui=0
s_setprio 3                                        // store optimization
/* pack scheduling: packAIdx:4, packBIdx:0 */
v_perm_b32 v[vgprValuA_X0_I0+4], v[vgprValuA_X0_I0_D1+1], v[vgprValuA_X0_I0_D0+1], s[sgprPackKForV0] // select K=01 for vector=0
v_perm_b32 v[vgprValuA_X0_I0+5], v[vgprValuA_X0_I0_D3+1], v[vgprValuA_X0_I0_D2+1], s[sgprPackKForV0] // select K=23 for vector=0
v_mfma_f32_16x16x16_bf16 a[4+0:7+0], v[vgprValuB_X0_I0+0+0+0:vgprValuB_X0_I0+0+0+0+1], v[vgprValuA_X0_I0+2+0+0:vgprValuA_X0_I0+2+0+0+1], a[4:7]
/*  mfmaIndex:2  */
_ds_load_b64 v[vgprValuB_X1_I0+2:vgprValuB_X1_I0+2+1], v[vgprLocalReadAddrB] offset:160 // L -> Reg lro=16 swapByteOffset=0 ti=32 vIdx=0 rIdx=0 oIdx=0 buffer=1 iui=0
/* pack scheduling: packAIdx:6, packBIdx:0 */
v_perm_b32 v[vgprValuA_X0_I0+6], v[vgprValuA_X0_I0_D1+1], v[vgprValuA_X0_I0_D0+1], s[sgprPackKForV1] // select K=01 for vector=1
v_perm_b32 v[vgprValuA_X0_I0+7], v[vgprValuA_X0_I0_D3+1], v[vgprValuA_X0_I0_D2+1], s[sgprPackKForV1] // select K=23 for vector=1
v_mfma_f32_16x16x16_bf16 a[8+0:11+0], v[vgprValuB_X0_I0+0+0+0:vgprValuB_X0_I0+0+0+0+1], v[vgprValuA_X0_I0+4+0+0:vgprValuA_X0_I0+4+0+0+1], a[8:11]
/*  mfmaIndex:3  */
_ds_load_b64 v[vgprValuB_X1_I0+4:vgprValuB_X1_I0+4+1], v[vgprLocalReadAddrB] offset:4256 // L -> Reg lro=16 swapByteOffset=0 ti=32 vIdx=1 rIdx=0 oIdx=0 buffer=1 iui=0
_buffer_load_b32 v[vgprG2LB+1], v[vgprGlobalReadOffsetB+1], s[sgprSrdB:sgprSrdB+3], 0, offen offset:0 // G -> Reg 0_0_1_0
v_mfma_f32_16x16x16_bf16 a[12+0:15+0], v[vgprValuB_X0_I0+0+0+0:vgprValuB_X0_I0+0+0+0+1], v[vgprValuA_X0_I0+6+0+0:vgprValuA_X0_I0+6+0+0+1], a[12:15]
/*  mfmaIndex:4  */
_ds_load_b64 v[vgprValuB_X1_I0+6:vgprValuB_X1_I0+6+1], v[vgprLocalReadAddrB] offset:4384 // L -> Reg lro=16 swapByteOffset=0 ti=32 vIdx=1 rIdx=0 oIdx=0 buffer=1 iui=0
v_mfma_f32_16x16x16_bf16 a[28+0:31+0], v[vgprValuB_X0_I0+2+0+0:vgprValuB_X0_I0+2+0+0+1], v[vgprValuA_X0_I0+6+0+0:vgprValuA_X0_I0+6+0+0+1], a[28:31]
/*  mfmaIndex:5  */
_ds_load_b64 v[vgprValuB_X1_I0+8:vgprValuB_X1_I0+8+1], v[vgprLocalReadAddrB] offset:8480 // L -> Reg lro=16 swapByteOffset=0 ti=32 vIdx=2 rIdx=0 oIdx=0 buffer=1 iui=0
	;; [unrolled: 3-line block ×4, first 2 shown]
_buffer_load_b32 v[vgprG2LB+2], v[vgprGlobalReadOffsetB+2], s[sgprSrdB:sgprSrdB+3], 0, offen offset:0 // G -> Reg 0_0_2_0
v_mfma_f32_16x16x16_bf16 a[16+0:19+0], v[vgprValuB_X0_I0+2+0+0:vgprValuB_X0_I0+2+0+0+1], v[vgprValuA_X0_I0+0+0+0:vgprValuA_X0_I0+0+0+0+1], a[16:19]
/*  mfmaIndex:8  */
_ds_load_b64 v[vgprValuB_X1_I0+14:vgprValuB_X1_I0+14+1], v[vgprLocalReadAddrB] offset:12832 // L -> Reg lro=16 swapByteOffset=0 ti=32 vIdx=3 rIdx=0 oIdx=0 buffer=1 iui=0
v_mfma_f32_16x16x16_bf16 a[32+0:35+0], v[vgprValuB_X0_I0+4+0+0:vgprValuB_X0_I0+4+0+0+1], v[vgprValuA_X0_I0+0+0+0:vgprValuA_X0_I0+0+0+0+1], a[32:35]
/*  mfmaIndex:9  */
_ds_load_b64 v[vgprValuB_X1_I0+16:vgprValuB_X1_I0+16+1], v[vgprLocalReadAddrB] offset:16928 // L -> Reg lro=16 swapByteOffset=0 ti=32 vIdx=4 rIdx=0 oIdx=0 buffer=1 iui=0
	;; [unrolled: 3-line block ×4, first 2 shown]
_buffer_load_b32 v[vgprG2LB+3], v[vgprGlobalReadOffsetB+3], s[sgprSrdB:sgprSrdB+3], 0, offen offset:0 // G -> Reg 0_0_3_0
v_mfma_f32_16x16x16_bf16 a[44+0:47+0], v[vgprValuB_X0_I0+4+0+0:vgprValuB_X0_I0+4+0+0+1], v[vgprValuA_X0_I0+6+0+0:vgprValuA_X0_I0+6+0+0+1], a[44:47]
/*  mfmaIndex:12  */
_ds_load_b64 v[vgprValuB_X1_I0+22:vgprValuB_X1_I0+22+1], v[vgprLocalReadAddrB] offset:21280 // L -> Reg lro=16 swapByteOffset=0 ti=32 vIdx=5 rIdx=0 oIdx=0 buffer=1 iui=0
v_mfma_f32_16x16x16_bf16 a[60+0:63+0], v[vgprValuB_X0_I0+6+0+0:vgprValuB_X0_I0+6+0+0+1], v[vgprValuA_X0_I0+6+0+0:vgprValuA_X0_I0+6+0+0+1], a[60:63]
/*  mfmaIndex:13  */
_ds_load_b64 v[vgprValuB_X1_I0+24:vgprValuB_X1_I0+24+1], v[vgprLocalReadAddrB] offset:25376 // L -> Reg lro=16 swapByteOffset=0 ti=32 vIdx=6 rIdx=0 oIdx=0 buffer=1 iui=0
	;; [unrolled: 3-line block ×4, first 2 shown]
_buffer_load_b32 v[vgprG2LB+4], v[vgprGlobalReadOffsetB+4], s[sgprSrdB:sgprSrdB+3], 0, offen offset:0 // G -> Reg 0_0_4_0
v_mfma_f32_16x16x16_bf16 a[48+0:51+0], v[vgprValuB_X0_I0+6+0+0:vgprValuB_X0_I0+6+0+0+1], v[vgprValuA_X0_I0+0+0+0:vgprValuA_X0_I0+0+0+0+1], a[48:51]
/*  mfmaIndex:16  */
_ds_load_b64 v[vgprValuB_X1_I0+30:vgprValuB_X1_I0+30+1], v[vgprLocalReadAddrB] offset:29728 // L -> Reg lro=16 swapByteOffset=0 ti=32 vIdx=7 rIdx=0 oIdx=0 buffer=1 iui=0
v_mfma_f32_16x16x16_bf16 a[64+0:67+0], v[vgprValuB_X0_I0+8+0+0:vgprValuB_X0_I0+8+0+0+1], v[vgprValuA_X0_I0+0+0+0:vgprValuA_X0_I0+0+0+0+1], a[64:67]
/*  mfmaIndex:17  */
/* localReadsVacancy: latencyLeft 2 */
v_mfma_f32_16x16x16_bf16 a[68+0:71+0], v[vgprValuB_X0_I0+8+0+0:vgprValuB_X0_I0+8+0+0+1], v[vgprValuA_X0_I0+2+0+0:vgprValuA_X0_I0+2+0+0+1], a[68:71]
/*  mfmaIndex:18  */
/* localReadsVacancy: latencyLeft 2 */
	;; [unrolled: 3-line block ×3, first 2 shown]
_buffer_load_b32 v[vgprG2LB+5], v[vgprGlobalReadOffsetB+5], s[sgprSrdB:sgprSrdB+3], 0, offen offset:0 // G -> Reg 0_0_5_0
v_mfma_f32_16x16x16_bf16 a[76+0:79+0], v[vgprValuB_X0_I0+8+0+0:vgprValuB_X0_I0+8+0+0+1], v[vgprValuA_X0_I0+6+0+0:vgprValuA_X0_I0+6+0+0+1], a[76:79]
/*  mfmaIndex:20  */
/* localReadsVacancy: latencyLeft 2 */
v_mfma_f32_16x16x16_bf16 a[92+0:95+0], v[vgprValuB_X0_I0+10+0+0:vgprValuB_X0_I0+10+0+0+1], v[vgprValuA_X0_I0+6+0+0:vgprValuA_X0_I0+6+0+0+1], a[92:95]
/*  mfmaIndex:21  */
/* localReadsVacancy: latencyLeft 2 */
	;; [unrolled: 3-line block ×4, first 2 shown]
_buffer_load_b32 v[vgprG2LB+6], v[vgprGlobalReadOffsetB+6], s[sgprSrdB:sgprSrdB+3], 0, offen offset:0 // G -> Reg 0_0_6_0
v_mfma_f32_16x16x16_bf16 a[80+0:83+0], v[vgprValuB_X0_I0+10+0+0:vgprValuB_X0_I0+10+0+0+1], v[vgprValuA_X0_I0+0+0+0:vgprValuA_X0_I0+0+0+0+1], a[80:83]
/*  mfmaIndex:24  */
/* localReadsVacancy: latencyLeft 2 */
v_mfma_f32_16x16x16_bf16 a[96+0:99+0], v[vgprValuB_X0_I0+12+0+0:vgprValuB_X0_I0+12+0+0+1], v[vgprValuA_X0_I0+0+0+0:vgprValuA_X0_I0+0+0+0+1], a[96:99]
/*  mfmaIndex:25  */
/* localReadsVacancy: latencyLeft 2 */
	;; [unrolled: 3-line block ×3, first 2 shown]
_buffer_load_b32 v[vgprG2LB+7], v[vgprGlobalReadOffsetB+7], s[sgprSrdB:sgprSrdB+3], 0, offen offset:0 // G -> Reg 0_0_7_0
v_mfma_f32_16x16x16_bf16 a[104+0:107+0], v[vgprValuB_X0_I0+12+0+0:vgprValuB_X0_I0+12+0+0+1], v[vgprValuA_X0_I0+4+0+0:vgprValuA_X0_I0+4+0+0+1], a[104:107]
/*  mfmaIndex:27  */
/* localReadsVacancy: latencyLeft 2 */
v_mfma_f32_16x16x16_bf16 a[108+0:111+0], v[vgprValuB_X0_I0+12+0+0:vgprValuB_X0_I0+12+0+0+1], v[vgprValuA_X0_I0+6+0+0:vgprValuA_X0_I0+6+0+0+1], a[108:111]
/*  mfmaIndex:28  */
/* localReadsVacancy: latencyLeft 2 */
v_mfma_f32_16x16x16_bf16 a[124+0:127+0], v[vgprValuB_X0_I0+14+0+0:vgprValuB_X0_I0+14+0+0+1], v[vgprValuA_X0_I0+6+0+0:vgprValuA_X0_I0+6+0+0+1], a[124:127]
/*  mfmaIndex:29  */
/* localReadsVacancy: latencyLeft 2 */
v_mfma_f32_16x16x16_bf16 a[120+0:123+0], v[vgprValuB_X0_I0+14+0+0:vgprValuB_X0_I0+14+0+0+1], v[vgprValuA_X0_I0+4+0+0:vgprValuA_X0_I0+4+0+0+1], a[120:123]
/*  mfmaIndex:30  */
/* localReadsVacancy: latencyLeft 2 */
_buffer_load_b32 v[vgprG2LB+8], v[vgprGlobalReadOffsetB+8], s[sgprSrdB:sgprSrdB+3], 0, offen offset:0 // G -> Reg 0_0_8_0
v_mfma_f32_16x16x16_bf16 a[116+0:119+0], v[vgprValuB_X0_I0+14+0+0:vgprValuB_X0_I0+14+0+0+1], v[vgprValuA_X0_I0+2+0+0:vgprValuA_X0_I0+2+0+0+1], a[116:119]
/*  mfmaIndex:31  */
/* localReadsVacancy: latencyLeft 2 */
v_mfma_f32_16x16x16_bf16 a[112+0:115+0], v[vgprValuB_X0_I0+14+0+0:vgprValuB_X0_I0+14+0+0+1], v[vgprValuA_X0_I0+0+0+0:vgprValuA_X0_I0+0+0+0+1], a[112:115]
/*  mfmaIndex:32  */
/* localReadsVacancy: latencyLeft 2 */
	;; [unrolled: 3-line block ×4, first 2 shown]
_buffer_load_b32 v[vgprG2LB+9], v[vgprGlobalReadOffsetB+9], s[sgprSrdB:sgprSrdB+3], 0, offen offset:0 // G -> Reg 0_0_9_0
v_mfma_f32_16x16x16_bf16 a[136+0:139+0], v[vgprValuB_X0_I0+16+0+0:vgprValuB_X0_I0+16+0+0+1], v[vgprValuA_X0_I0+4+0+0:vgprValuA_X0_I0+4+0+0+1], a[136:139]
/*  mfmaIndex:35  */
/* localReadsVacancy: latencyLeft 2 */
v_mfma_f32_16x16x16_bf16 a[140+0:143+0], v[vgprValuB_X0_I0+16+0+0:vgprValuB_X0_I0+16+0+0+1], v[vgprValuA_X0_I0+6+0+0:vgprValuA_X0_I0+6+0+0+1], a[140:143]
/*  mfmaIndex:36  */
/* localReadsVacancy: latencyLeft 2 */
	;; [unrolled: 3-line block ×4, first 2 shown]
_buffer_load_b32 v[vgprG2LB+10], v[vgprGlobalReadOffsetB+10], s[sgprSrdB:sgprSrdB+3], 0, offen offset:0 // G -> Reg 0_0_10_0
v_mfma_f32_16x16x16_bf16 a[148+0:151+0], v[vgprValuB_X0_I0+18+0+0:vgprValuB_X0_I0+18+0+0+1], v[vgprValuA_X0_I0+2+0+0:vgprValuA_X0_I0+2+0+0+1], a[148:151]
/*  mfmaIndex:39  */
/* localReadsVacancy: latencyLeft 2 */
v_mfma_f32_16x16x16_bf16 a[144+0:147+0], v[vgprValuB_X0_I0+18+0+0:vgprValuB_X0_I0+18+0+0+1], v[vgprValuA_X0_I0+0+0+0:vgprValuA_X0_I0+0+0+0+1], a[144:147]
/*  mfmaIndex:40  */
/* localReadsVacancy: latencyLeft 2 */
	;; [unrolled: 3-line block ×4, first 2 shown]
_buffer_load_b32 v[vgprG2LB+11], v[vgprGlobalReadOffsetB+11], s[sgprSrdB:sgprSrdB+3], 0, offen offset:0 // G -> Reg 0_0_11_0
v_mfma_f32_16x16x16_bf16 a[168+0:171+0], v[vgprValuB_X0_I0+20+0+0:vgprValuB_X0_I0+20+0+0+1], v[vgprValuA_X0_I0+4+0+0:vgprValuA_X0_I0+4+0+0+1], a[168:171]
/*  mfmaIndex:43  */
/* localReadsVacancy: latencyLeft 2 */
v_mfma_f32_16x16x16_bf16 a[172+0:175+0], v[vgprValuB_X0_I0+20+0+0:vgprValuB_X0_I0+20+0+0+1], v[vgprValuA_X0_I0+6+0+0:vgprValuA_X0_I0+6+0+0+1], a[172:175]
/*  mfmaIndex:44  */
/* localReadsVacancy: latencyLeft 2 */
v_mfma_f32_16x16x16_bf16 a[188+0:191+0], v[vgprValuB_X0_I0+22+0+0:vgprValuB_X0_I0+22+0+0+1], v[vgprValuA_X0_I0+6+0+0:vgprValuA_X0_I0+6+0+0+1], a[188:191]
/*  mfmaIndex:45  */
/* localReadsVacancy: latencyLeft 2 */
v_mfma_f32_16x16x16_bf16 a[184+0:187+0], v[vgprValuB_X0_I0+22+0+0:vgprValuB_X0_I0+22+0+0+1], v[vgprValuA_X0_I0+4+0+0:vgprValuA_X0_I0+4+0+0+1], a[184:187]
/*  mfmaIndex:46  */
/* localReadsVacancy: latencyLeft 2 */
_buffer_load_b32 v[vgprG2LB+12], v[vgprGlobalReadOffsetB+12], s[sgprSrdB:sgprSrdB+3], 0, offen offset:0 // G -> Reg 0_0_12_0
v_mfma_f32_16x16x16_bf16 a[180+0:183+0], v[vgprValuB_X0_I0+22+0+0:vgprValuB_X0_I0+22+0+0+1], v[vgprValuA_X0_I0+2+0+0:vgprValuA_X0_I0+2+0+0+1], a[180:183]
/*  mfmaIndex:47  */
/* localReadsVacancy: latencyLeft 2 */
v_mfma_f32_16x16x16_bf16 a[176+0:179+0], v[vgprValuB_X0_I0+22+0+0:vgprValuB_X0_I0+22+0+0+1], v[vgprValuA_X0_I0+0+0+0:vgprValuA_X0_I0+0+0+0+1], a[176:179]
/*  mfmaIndex:48  */
/* localReadsVacancy: latencyLeft 2 */
	;; [unrolled: 3-line block ×4, first 2 shown]
_buffer_load_b32 v[vgprG2LB+13], v[vgprGlobalReadOffsetB+13], s[sgprSrdB:sgprSrdB+3], 0, offen offset:0 // G -> Reg 0_0_13_0
v_mfma_f32_16x16x16_bf16 a[200+0:203+0], v[vgprValuB_X0_I0+24+0+0:vgprValuB_X0_I0+24+0+0+1], v[vgprValuA_X0_I0+4+0+0:vgprValuA_X0_I0+4+0+0+1], a[200:203]
/*  mfmaIndex:51  */
/* localReadsVacancy: latencyLeft 2 */
v_mfma_f32_16x16x16_bf16 a[204+0:207+0], v[vgprValuB_X0_I0+24+0+0:vgprValuB_X0_I0+24+0+0+1], v[vgprValuA_X0_I0+6+0+0:vgprValuA_X0_I0+6+0+0+1], a[204:207]
/*  mfmaIndex:52  */
/* localReadsVacancy: latencyLeft 2 */
	;; [unrolled: 3-line block ×3, first 2 shown]
_buffer_load_b32 v[vgprG2LB+14], v[vgprGlobalReadOffsetB+14], s[sgprSrdB:sgprSrdB+3], 0, offen offset:0 // G -> Reg 0_0_14_0
v_mfma_f32_16x16x16_bf16 a[216+0:219+0], v[vgprValuB_X0_I0+26+0+0:vgprValuB_X0_I0+26+0+0+1], v[vgprValuA_X0_I0+4+0+0:vgprValuA_X0_I0+4+0+0+1], a[216:219]
/*  mfmaIndex:54  */
/* localReadsVacancy: latencyLeft 2 */
v_mfma_f32_16x16x16_bf16 a[212+0:215+0], v[vgprValuB_X0_I0+26+0+0:vgprValuB_X0_I0+26+0+0+1], v[vgprValuA_X0_I0+2+0+0:vgprValuA_X0_I0+2+0+0+1], a[212:215]
/*  mfmaIndex:55  */
/* localReadsVacancy: latencyLeft 2 */
	;; [unrolled: 3-line block ×4, first 2 shown]
_buffer_load_b32 v[vgprG2LB+15], v[vgprGlobalReadOffsetB+15], s[sgprSrdB:sgprSrdB+3], 0, offen offset:0 // G -> Reg 0_0_15_0
v_mfma_f32_16x16x16_bf16 a[228+0:231+0], v[vgprValuB_X0_I0+28+0+0:vgprValuB_X0_I0+28+0+0+1], v[vgprValuA_X0_I0+2+0+0:vgprValuA_X0_I0+2+0+0+1], a[228:231]
/*  mfmaIndex:58  */
/* localReadsVacancy: latencyLeft 2 */
v_mfma_f32_16x16x16_bf16 a[232+0:235+0], v[vgprValuB_X0_I0+28+0+0:vgprValuB_X0_I0+28+0+0+1], v[vgprValuA_X0_I0+4+0+0:vgprValuA_X0_I0+4+0+0+1], a[232:235]
/*  mfmaIndex:59  */
/* localReadsVacancy: latencyLeft 2 */
	;; [unrolled: 3-line block ×4, first 2 shown]
_buffer_load_b32 v[vgprG2LB+16], v[vgprGlobalReadOffsetB+16], s[sgprSrdB:sgprSrdB+3], 0, offen offset:0 // G -> Reg 0_0_16_0
v_mfma_f32_16x16x16_bf16 a[248+0:251+0], v[vgprValuB_X0_I0+30+0+0:vgprValuB_X0_I0+30+0+0+1], v[vgprValuA_X0_I0+4+0+0:vgprValuA_X0_I0+4+0+0+1], a[248:251]
/*  mfmaIndex:62  */
/* localReadsVacancy: latencyLeft 2 */
v_mfma_f32_16x16x16_bf16 a[244+0:247+0], v[vgprValuB_X0_I0+30+0+0:vgprValuB_X0_I0+30+0+0+1], v[vgprValuA_X0_I0+2+0+0:vgprValuA_X0_I0+2+0+0+1], a[244:247]
/*  mfmaIndex:63  */
/* localReadsVacancy: latencyLeft 2 */
v_mfma_f32_16x16x16_bf16 a[240+0:243+0], v[vgprValuB_X0_I0+30+0+0:vgprValuB_X0_I0+30+0+0+1], v[vgprValuA_X0_I0+0+0+0:vgprValuA_X0_I0+0+0+0+1], a[240:243]
/* numPrefetchIter=0 */
/* dataAtIterA=-1 numReadsIterA=1 skipReadsIterA=1 readsPerIterA=1 */
/* dataAtIterB=-1 numReadsIterB=1 skipReadsIterB=1 readsPerIterB=16 */


/* iter 1 */

s_waitcnt vmcnt(25)                                // lgkmcnt=-1 vmcnt=25global read wait for DirectToVgpr

/*  grEndMfmaIndex:184, lwStartMfmaIndex:197, lwEndMfmaIndex:228  */
/*  numMfmaForLR:21, barrierMfmaIndex:234 */
/*  mfmaIndex:64  */
_ds_load_b64 v[vgprValuB_X0_I0+0:vgprValuB_X0_I0+0+1], v[vgprLocalReadAddrB] offset:64 // L -> Reg lro=32 swapByteOffset=0 ti=32 vIdx=0 rIdx=0 oIdx=0 buffer=0 iui=0
s_waitcnt lgkmcnt(1)                               // lgkmcnt=0 vmcnt=-1wait for prior local read local write old=0, new=1 newLW=0 newLR=1
/* pack scheduling: packAIdx:2, packBIdx:0 */
v_perm_b32 v[vgprValuA_X1_I0+0], v[vgprValuA_X1_I0_D1+0], v[vgprValuA_X1_I0_D0+0], s[sgprPackKForV0] // select K=01 for vector=0
v_perm_b32 v[vgprValuA_X1_I0+1], v[vgprValuA_X1_I0_D3+0], v[vgprValuA_X1_I0_D2+0], s[sgprPackKForV0] // select K=23 for vector=0
v_perm_b32 v[vgprValuA_X1_I0+2], v[vgprValuA_X1_I0_D1+0], v[vgprValuA_X1_I0_D0+0], s[sgprPackKForV1] // select K=01 for vector=1
v_perm_b32 v[vgprValuA_X1_I0+3], v[vgprValuA_X1_I0_D3+0], v[vgprValuA_X1_I0_D2+0], s[sgprPackKForV1] // select K=23 for vector=1
v_mfma_f32_16x16x16_bf16 a[0+0:3+0], v[vgprValuB_X1_I0+0+0+0:vgprValuB_X1_I0+0+0+0+1], v[vgprValuA_X1_I0+0+0+0:vgprValuA_X1_I0+0+0+0+1], a[0:3]
/*  mfmaIndex:65  */
_ds_load_b64 v[vgprValuB_X0_I0+2:vgprValuB_X0_I0+2+1], v[vgprLocalReadAddrB] offset:192 // L -> Reg lro=32 swapByteOffset=0 ti=32 vIdx=0 rIdx=0 oIdx=0 buffer=0 iui=0
_buffer_load_b32 v[vgprG2LB+17], v[vgprGlobalReadOffsetB+17], s[sgprSrdB:sgprSrdB+3], 0, offen offset:0 // G -> Reg 0_0_17_0
/* pack scheduling: packAIdx:4, packBIdx:0 */
v_perm_b32 v[vgprValuA_X1_I0+4], v[vgprValuA_X1_I0_D1+1], v[vgprValuA_X1_I0_D0+1], s[sgprPackKForV0] // select K=01 for vector=0
v_perm_b32 v[vgprValuA_X1_I0+5], v[vgprValuA_X1_I0_D3+1], v[vgprValuA_X1_I0_D2+1], s[sgprPackKForV0] // select K=23 for vector=0
v_mfma_f32_16x16x16_bf16 a[4+0:7+0], v[vgprValuB_X1_I0+0+0+0:vgprValuB_X1_I0+0+0+0+1], v[vgprValuA_X1_I0+2+0+0:vgprValuA_X1_I0+2+0+0+1], a[4:7]
/*  mfmaIndex:66  */
_ds_load_b64 v[vgprValuB_X0_I0+4:vgprValuB_X0_I0+4+1], v[vgprLocalReadAddrB] offset:4288 // L -> Reg lro=32 swapByteOffset=0 ti=32 vIdx=1 rIdx=0 oIdx=0 buffer=0 iui=0
/* pack scheduling: packAIdx:6, packBIdx:0 */
v_perm_b32 v[vgprValuA_X1_I0+6], v[vgprValuA_X1_I0_D1+1], v[vgprValuA_X1_I0_D0+1], s[sgprPackKForV1] // select K=01 for vector=1
v_perm_b32 v[vgprValuA_X1_I0+7], v[vgprValuA_X1_I0_D3+1], v[vgprValuA_X1_I0_D2+1], s[sgprPackKForV1] // select K=23 for vector=1
v_mfma_f32_16x16x16_bf16 a[8+0:11+0], v[vgprValuB_X1_I0+0+0+0:vgprValuB_X1_I0+0+0+0+1], v[vgprValuA_X1_I0+4+0+0:vgprValuA_X1_I0+4+0+0+1], a[8:11]
/*  mfmaIndex:67  */
_ds_load_b64 v[vgprValuB_X0_I0+6:vgprValuB_X0_I0+6+1], v[vgprLocalReadAddrB] offset:4416 // L -> Reg lro=32 swapByteOffset=0 ti=32 vIdx=1 rIdx=0 oIdx=0 buffer=0 iui=0
v_mfma_f32_16x16x16_bf16 a[12+0:15+0], v[vgprValuB_X1_I0+0+0+0:vgprValuB_X1_I0+0+0+0+1], v[vgprValuA_X1_I0+6+0+0:vgprValuA_X1_I0+6+0+0+1], a[12:15]
/*  mfmaIndex:68  */
_ds_load_b64 v[vgprValuB_X0_I0+8:vgprValuB_X0_I0+8+1], v[vgprLocalReadAddrB] offset:8512 // L -> Reg lro=32 swapByteOffset=0 ti=32 vIdx=2 rIdx=0 oIdx=0 buffer=0 iui=0
	;; [unrolled: 3-line block ×3, first 2 shown]
_buffer_load_b32 v[vgprG2LB+18], v[vgprGlobalReadOffsetB+18], s[sgprSrdB:sgprSrdB+3], 0, offen offset:0 // G -> Reg 0_0_18_0
v_mfma_f32_16x16x16_bf16 a[24+0:27+0], v[vgprValuB_X1_I0+2+0+0:vgprValuB_X1_I0+2+0+0+1], v[vgprValuA_X1_I0+4+0+0:vgprValuA_X1_I0+4+0+0+1], a[24:27]
/*  mfmaIndex:70  */
_ds_load_b64 v[vgprValuB_X0_I0+12:vgprValuB_X0_I0+12+1], v[vgprLocalReadAddrB] offset:12736 // L -> Reg lro=32 swapByteOffset=0 ti=32 vIdx=3 rIdx=0 oIdx=0 buffer=0 iui=0
v_mfma_f32_16x16x16_bf16 a[20+0:23+0], v[vgprValuB_X1_I0+2+0+0:vgprValuB_X1_I0+2+0+0+1], v[vgprValuA_X1_I0+2+0+0:vgprValuA_X1_I0+2+0+0+1], a[20:23]
/*  mfmaIndex:71  */
_ds_load_b64 v[vgprValuB_X0_I0+14:vgprValuB_X0_I0+14+1], v[vgprLocalReadAddrB] offset:12864 // L -> Reg lro=32 swapByteOffset=0 ti=32 vIdx=3 rIdx=0 oIdx=0 buffer=0 iui=0
	;; [unrolled: 3-line block ×4, first 2 shown]
_buffer_load_b32 v[vgprG2LB+19], v[vgprGlobalReadOffsetB+19], s[sgprSrdB:sgprSrdB+3], 0, offen offset:0 // G -> Reg 0_0_19_0
v_mfma_f32_16x16x16_bf16 a[36+0:39+0], v[vgprValuB_X1_I0+4+0+0:vgprValuB_X1_I0+4+0+0+1], v[vgprValuA_X1_I0+2+0+0:vgprValuA_X1_I0+2+0+0+1], a[36:39]
/*  mfmaIndex:74  */
_ds_load_b64 v[vgprValuB_X0_I0+20:vgprValuB_X0_I0+20+1], v[vgprLocalReadAddrB] offset:21184 // L -> Reg lro=32 swapByteOffset=0 ti=32 vIdx=5 rIdx=0 oIdx=0 buffer=0 iui=0
v_mfma_f32_16x16x16_bf16 a[40+0:43+0], v[vgprValuB_X1_I0+4+0+0:vgprValuB_X1_I0+4+0+0+1], v[vgprValuA_X1_I0+4+0+0:vgprValuA_X1_I0+4+0+0+1], a[40:43]
/*  mfmaIndex:75  */
_ds_load_b64 v[vgprValuB_X0_I0+22:vgprValuB_X0_I0+22+1], v[vgprLocalReadAddrB] offset:21312 // L -> Reg lro=32 swapByteOffset=0 ti=32 vIdx=5 rIdx=0 oIdx=0 buffer=0 iui=0
	;; [unrolled: 3-line block ×3, first 2 shown]
_buffer_load_b32 v[vgprG2LB+20], v[vgprGlobalReadOffsetB+20], s[sgprSrdB:sgprSrdB+3], 0, offen offset:0 // G -> Reg 0_0_20_0
v_mfma_f32_16x16x16_bf16 a[60+0:63+0], v[vgprValuB_X1_I0+6+0+0:vgprValuB_X1_I0+6+0+0+1], v[vgprValuA_X1_I0+6+0+0:vgprValuA_X1_I0+6+0+0+1], a[60:63]
/*  mfmaIndex:77  */
_ds_load_b64 v[vgprValuB_X0_I0+26:vgprValuB_X0_I0+26+1], v[vgprLocalReadAddrB] offset:25536 // L -> Reg lro=32 swapByteOffset=0 ti=32 vIdx=6 rIdx=0 oIdx=0 buffer=0 iui=0
v_mfma_f32_16x16x16_bf16 a[56+0:59+0], v[vgprValuB_X1_I0+6+0+0:vgprValuB_X1_I0+6+0+0+1], v[vgprValuA_X1_I0+4+0+0:vgprValuA_X1_I0+4+0+0+1], a[56:59]
/*  mfmaIndex:78  */
_ds_load_b64 v[vgprValuB_X0_I0+28:vgprValuB_X0_I0+28+1], v[vgprLocalReadAddrB] offset:29632 // L -> Reg lro=32 swapByteOffset=0 ti=32 vIdx=7 rIdx=0 oIdx=0 buffer=0 iui=0
	;; [unrolled: 3-line block ×3, first 2 shown]
v_mfma_f32_16x16x16_bf16 a[48+0:51+0], v[vgprValuB_X1_I0+6+0+0:vgprValuB_X1_I0+6+0+0+1], v[vgprValuA_X1_I0+0+0+0:vgprValuA_X1_I0+0+0+0+1], a[48:51]
/*  mfmaIndex:80  */
/* localReadsVacancy: latencyLeft 2 */
_buffer_load_b32 v[vgprG2LB+21], v[vgprGlobalReadOffsetB+21], s[sgprSrdB:sgprSrdB+3], 0, offen offset:0 // G -> Reg 0_0_21_0
v_mfma_f32_16x16x16_bf16 a[64+0:67+0], v[vgprValuB_X1_I0+8+0+0:vgprValuB_X1_I0+8+0+0+1], v[vgprValuA_X1_I0+0+0+0:vgprValuA_X1_I0+0+0+0+1], a[64:67]
/*  mfmaIndex:81  */
/* localReadsVacancy: latencyLeft 2 */
v_mfma_f32_16x16x16_bf16 a[68+0:71+0], v[vgprValuB_X1_I0+8+0+0:vgprValuB_X1_I0+8+0+0+1], v[vgprValuA_X1_I0+2+0+0:vgprValuA_X1_I0+2+0+0+1], a[68:71]
/*  mfmaIndex:82  */
/* localReadsVacancy: latencyLeft 2 */
	;; [unrolled: 3-line block ×4, first 2 shown]
_buffer_load_b32 v[vgprG2LB+22], v[vgprGlobalReadOffsetB+22], s[sgprSrdB:sgprSrdB+3], 0, offen offset:0 // G -> Reg 0_0_22_0
v_mfma_f32_16x16x16_bf16 a[92+0:95+0], v[vgprValuB_X1_I0+10+0+0:vgprValuB_X1_I0+10+0+0+1], v[vgprValuA_X1_I0+6+0+0:vgprValuA_X1_I0+6+0+0+1], a[92:95]
/*  mfmaIndex:85  */
/* localReadsVacancy: latencyLeft 2 */
v_mfma_f32_16x16x16_bf16 a[88+0:91+0], v[vgprValuB_X1_I0+10+0+0:vgprValuB_X1_I0+10+0+0+1], v[vgprValuA_X1_I0+4+0+0:vgprValuA_X1_I0+4+0+0+1], a[88:91]
/*  mfmaIndex:86  */
/* localReadsVacancy: latencyLeft 2 */
	;; [unrolled: 3-line block ×4, first 2 shown]
_buffer_load_b32 v[vgprG2LB+23], v[vgprGlobalReadOffsetB+23], s[sgprSrdB:sgprSrdB+3], 0, offen offset:0 // G -> Reg 0_0_23_0
v_mfma_f32_16x16x16_bf16 a[96+0:99+0], v[vgprValuB_X1_I0+12+0+0:vgprValuB_X1_I0+12+0+0+1], v[vgprValuA_X1_I0+0+0+0:vgprValuA_X1_I0+0+0+0+1], a[96:99]
/*  mfmaIndex:89  */
/* localReadsVacancy: latencyLeft 2 */
v_mfma_f32_16x16x16_bf16 a[100+0:103+0], v[vgprValuB_X1_I0+12+0+0:vgprValuB_X1_I0+12+0+0+1], v[vgprValuA_X1_I0+2+0+0:vgprValuA_X1_I0+2+0+0+1], a[100:103]
/*  mfmaIndex:90  */
/* localReadsVacancy: latencyLeft 2 */
	;; [unrolled: 3-line block ×4, first 2 shown]
_buffer_load_b32 v[vgprG2LB+24], v[vgprGlobalReadOffsetB+24], s[sgprSrdB:sgprSrdB+3], 0, offen offset:0 // G -> Reg 0_0_24_0
v_mfma_f32_16x16x16_bf16 a[124+0:127+0], v[vgprValuB_X1_I0+14+0+0:vgprValuB_X1_I0+14+0+0+1], v[vgprValuA_X1_I0+6+0+0:vgprValuA_X1_I0+6+0+0+1], a[124:127]
/*  mfmaIndex:93  */
/* localReadsVacancy: latencyLeft 2 */
v_mfma_f32_16x16x16_bf16 a[120+0:123+0], v[vgprValuB_X1_I0+14+0+0:vgprValuB_X1_I0+14+0+0+1], v[vgprValuA_X1_I0+4+0+0:vgprValuA_X1_I0+4+0+0+1], a[120:123]
/*  mfmaIndex:94  */
/* localReadsVacancy: latencyLeft 2 */
v_mfma_f32_16x16x16_bf16 a[116+0:119+0], v[vgprValuB_X1_I0+14+0+0:vgprValuB_X1_I0+14+0+0+1], v[vgprValuA_X1_I0+2+0+0:vgprValuA_X1_I0+2+0+0+1], a[116:119]
/*  mfmaIndex:95  */
/* localReadsVacancy: latencyLeft 2 */
v_mfma_f32_16x16x16_bf16 a[112+0:115+0], v[vgprValuB_X1_I0+14+0+0:vgprValuB_X1_I0+14+0+0+1], v[vgprValuA_X1_I0+0+0+0:vgprValuA_X1_I0+0+0+0+1], a[112:115]
/*  mfmaIndex:96  */
/* localReadsVacancy: latencyLeft 2 */
_buffer_load_b32 v[vgprG2LB+25], v[vgprGlobalReadOffsetB+25], s[sgprSrdB:sgprSrdB+3], 0, offen offset:0 // G -> Reg 0_0_25_0
v_mfma_f32_16x16x16_bf16 a[128+0:131+0], v[vgprValuB_X1_I0+16+0+0:vgprValuB_X1_I0+16+0+0+1], v[vgprValuA_X1_I0+0+0+0:vgprValuA_X1_I0+0+0+0+1], a[128:131]
/*  mfmaIndex:97  */
/* localReadsVacancy: latencyLeft 2 */
v_mfma_f32_16x16x16_bf16 a[132+0:135+0], v[vgprValuB_X1_I0+16+0+0:vgprValuB_X1_I0+16+0+0+1], v[vgprValuA_X1_I0+2+0+0:vgprValuA_X1_I0+2+0+0+1], a[132:135]
/*  mfmaIndex:98  */
/* localReadsVacancy: latencyLeft 2 */
v_mfma_f32_16x16x16_bf16 a[136+0:139+0], v[vgprValuB_X1_I0+16+0+0:vgprValuB_X1_I0+16+0+0+1], v[vgprValuA_X1_I0+4+0+0:vgprValuA_X1_I0+4+0+0+1], a[136:139]
/*  mfmaIndex:99  */
/* localReadsVacancy: latencyLeft 2 */
v_mfma_f32_16x16x16_bf16 a[140+0:143+0], v[vgprValuB_X1_I0+16+0+0:vgprValuB_X1_I0+16+0+0+1], v[vgprValuA_X1_I0+6+0+0:vgprValuA_X1_I0+6+0+0+1], a[140:143]
/*  mfmaIndex:100  */
/* localReadsVacancy: latencyLeft 2 */
_buffer_load_b32 v[vgprG2LB+26], v[vgprGlobalReadOffsetB+26], s[sgprSrdB:sgprSrdB+3], 0, offen offset:0 // G -> Reg 0_0_26_0
v_mfma_f32_16x16x16_bf16 a[156+0:159+0], v[vgprValuB_X1_I0+18+0+0:vgprValuB_X1_I0+18+0+0+1], v[vgprValuA_X1_I0+6+0+0:vgprValuA_X1_I0+6+0+0+1], a[156:159]
/*  mfmaIndex:101  */
/* localReadsVacancy: latencyLeft 2 */
v_mfma_f32_16x16x16_bf16 a[152+0:155+0], v[vgprValuB_X1_I0+18+0+0:vgprValuB_X1_I0+18+0+0+1], v[vgprValuA_X1_I0+4+0+0:vgprValuA_X1_I0+4+0+0+1], a[152:155]
/*  mfmaIndex:102  */
/* localReadsVacancy: latencyLeft 2 */
	;; [unrolled: 3-line block ×3, first 2 shown]
_buffer_load_b32 v[vgprG2LB+27], v[vgprGlobalReadOffsetB+27], s[sgprSrdB:sgprSrdB+3], 0, offen offset:0 // G -> Reg 0_0_27_0
v_mfma_f32_16x16x16_bf16 a[144+0:147+0], v[vgprValuB_X1_I0+18+0+0:vgprValuB_X1_I0+18+0+0+1], v[vgprValuA_X1_I0+0+0+0:vgprValuA_X1_I0+0+0+0+1], a[144:147]
/*  mfmaIndex:104  */
/* localReadsVacancy: latencyLeft 2 */
v_mfma_f32_16x16x16_bf16 a[160+0:163+0], v[vgprValuB_X1_I0+20+0+0:vgprValuB_X1_I0+20+0+0+1], v[vgprValuA_X1_I0+0+0+0:vgprValuA_X1_I0+0+0+0+1], a[160:163]
/*  mfmaIndex:105  */
/* localReadsVacancy: latencyLeft 2 */
	;; [unrolled: 3-line block ×4, first 2 shown]
_buffer_load_b32 v[vgprG2LB+28], v[vgprGlobalReadOffsetB+28], s[sgprSrdB:sgprSrdB+3], 0, offen offset:0 // G -> Reg 0_0_28_0
v_mfma_f32_16x16x16_bf16 a[172+0:175+0], v[vgprValuB_X1_I0+20+0+0:vgprValuB_X1_I0+20+0+0+1], v[vgprValuA_X1_I0+6+0+0:vgprValuA_X1_I0+6+0+0+1], a[172:175]
/*  mfmaIndex:108  */
/* localReadsVacancy: latencyLeft 2 */
v_mfma_f32_16x16x16_bf16 a[188+0:191+0], v[vgprValuB_X1_I0+22+0+0:vgprValuB_X1_I0+22+0+0+1], v[vgprValuA_X1_I0+6+0+0:vgprValuA_X1_I0+6+0+0+1], a[188:191]
/*  mfmaIndex:109  */
/* localReadsVacancy: latencyLeft 2 */
	;; [unrolled: 3-line block ×4, first 2 shown]
_buffer_load_b32 v[vgprG2LB+29], v[vgprGlobalReadOffsetB+29], s[sgprSrdB:sgprSrdB+3], 0, offen offset:0 // G -> Reg 0_0_29_0
v_mfma_f32_16x16x16_bf16 a[176+0:179+0], v[vgprValuB_X1_I0+22+0+0:vgprValuB_X1_I0+22+0+0+1], v[vgprValuA_X1_I0+0+0+0:vgprValuA_X1_I0+0+0+0+1], a[176:179]
/*  mfmaIndex:112  */
/* localReadsVacancy: latencyLeft 2 */
v_mfma_f32_16x16x16_bf16 a[192+0:195+0], v[vgprValuB_X1_I0+24+0+0:vgprValuB_X1_I0+24+0+0+1], v[vgprValuA_X1_I0+0+0+0:vgprValuA_X1_I0+0+0+0+1], a[192:195]
/*  mfmaIndex:113  */
/* localReadsVacancy: latencyLeft 2 */
v_mfma_f32_16x16x16_bf16 a[196+0:199+0], v[vgprValuB_X1_I0+24+0+0:vgprValuB_X1_I0+24+0+0+1], v[vgprValuA_X1_I0+2+0+0:vgprValuA_X1_I0+2+0+0+1], a[196:199]
/*  mfmaIndex:114  */
/* localReadsVacancy: latencyLeft 2 */
v_mfma_f32_16x16x16_bf16 a[200+0:203+0], v[vgprValuB_X1_I0+24+0+0:vgprValuB_X1_I0+24+0+0+1], v[vgprValuA_X1_I0+4+0+0:vgprValuA_X1_I0+4+0+0+1], a[200:203]
/*  mfmaIndex:115  */
/* localReadsVacancy: latencyLeft 2 */
_buffer_load_b32 v[vgprG2LB+30], v[vgprGlobalReadOffsetB+30], s[sgprSrdB:sgprSrdB+3], 0, offen offset:0 // G -> Reg 0_0_30_0
v_mfma_f32_16x16x16_bf16 a[204+0:207+0], v[vgprValuB_X1_I0+24+0+0:vgprValuB_X1_I0+24+0+0+1], v[vgprValuA_X1_I0+6+0+0:vgprValuA_X1_I0+6+0+0+1], a[204:207]
/*  mfmaIndex:116  */
/* localReadsVacancy: latencyLeft 2 */
v_mfma_f32_16x16x16_bf16 a[220+0:223+0], v[vgprValuB_X1_I0+26+0+0:vgprValuB_X1_I0+26+0+0+1], v[vgprValuA_X1_I0+6+0+0:vgprValuA_X1_I0+6+0+0+1], a[220:223]
/*  mfmaIndex:117  */
/* localReadsVacancy: latencyLeft 2 */
	;; [unrolled: 3-line block ×4, first 2 shown]
_buffer_load_b32 v[vgprG2LB+31], v[vgprGlobalReadOffsetB+31], s[sgprSrdB:sgprSrdB+3], 0, offen offset:0 // G -> Reg 0_0_31_0
v_mfma_f32_16x16x16_bf16 a[208+0:211+0], v[vgprValuB_X1_I0+26+0+0:vgprValuB_X1_I0+26+0+0+1], v[vgprValuA_X1_I0+0+0+0:vgprValuA_X1_I0+0+0+0+1], a[208:211]
/*  mfmaIndex:120  */
/* localReadsVacancy: latencyLeft 2 */
v_mfma_f32_16x16x16_bf16 a[224+0:227+0], v[vgprValuB_X1_I0+28+0+0:vgprValuB_X1_I0+28+0+0+1], v[vgprValuA_X1_I0+0+0+0:vgprValuA_X1_I0+0+0+0+1], a[224:227]
/*  mfmaIndex:121  */
/* localReadsVacancy: latencyLeft 2 */
v_mfma_f32_16x16x16_bf16 a[228+0:231+0], v[vgprValuB_X1_I0+28+0+0:vgprValuB_X1_I0+28+0+0+1], v[vgprValuA_X1_I0+2+0+0:vgprValuA_X1_I0+2+0+0+1], a[228:231]
/*  mfmaIndex:122  */
/* localReadsVacancy: latencyLeft 2 */
v_mfma_f32_16x16x16_bf16 a[232+0:235+0], v[vgprValuB_X1_I0+28+0+0:vgprValuB_X1_I0+28+0+0+1], v[vgprValuA_X1_I0+4+0+0:vgprValuA_X1_I0+4+0+0+1], a[232:235]
/*  mfmaIndex:123  */
/* localReadsVacancy: latencyLeft 2 */
_buffer_load_b64 v[vgprG2LA1+0:vgprG2LA1+0+1], v[vgprGlobalReadOffsetA+0], s[sgprSrdA:sgprSrdA+3], 0, offen offset:0 // G -> Reg 0_0_0_0
v_mfma_f32_16x16x16_bf16 a[236+0:239+0], v[vgprValuB_X1_I0+28+0+0:vgprValuB_X1_I0+28+0+0+1], v[vgprValuA_X1_I0+6+0+0:vgprValuA_X1_I0+6+0+0+1], a[236:239]
/*  mfmaIndex:124  */
/* localReadsVacancy: latencyLeft 2 */
v_mfma_f32_16x16x16_bf16 a[252+0:255+0], v[vgprValuB_X1_I0+30+0+0:vgprValuB_X1_I0+30+0+0+1], v[vgprValuA_X1_I0+6+0+0:vgprValuA_X1_I0+6+0+0+1], a[252:255]
/*  mfmaIndex:125  */
/* localReadsVacancy: latencyLeft 2 */
	;; [unrolled: 3-line block ×3, first 2 shown]
_buffer_load_b64 v[vgprG2LA1+2:vgprG2LA1+2+1], v[vgprGlobalReadOffsetA+1], s[sgprSrdA:sgprSrdA+3], 0, offen offset:0 // G -> Reg 0_0_1_0
v_mfma_f32_16x16x16_bf16 a[244+0:247+0], v[vgprValuB_X1_I0+30+0+0:vgprValuB_X1_I0+30+0+0+1], v[vgprValuA_X1_I0+2+0+0:vgprValuA_X1_I0+2+0+0+1], a[244:247]
/*  mfmaIndex:127  */
/* localReadsVacancy: latencyLeft 2 */
v_mfma_f32_16x16x16_bf16 a[240+0:243+0], v[vgprValuB_X1_I0+30+0+0:vgprValuB_X1_I0+30+0+0+1], v[vgprValuA_X1_I0+0+0+0:vgprValuA_X1_I0+0+0+0+1], a[240:243]
/* numPrefetchIter=0 */
/* dataAtIterA=0 numReadsIterA=2 skipReadsIterA=1 readsPerIterA=1 */
/* dataAtIterB=0 numReadsIterB=2 skipReadsIterB=1 readsPerIterB=16 */


/* iter 2 (reset local read pointers iteration)  (swap local read pointers iteration)  */

s_waitcnt vmcnt(38)                                // lgkmcnt=-1 vmcnt=38global read wait for DirectToVgpr

/*  grEndMfmaIndex:184, lwStartMfmaIndex:197, lwEndMfmaIndex:228  */
/*  numMfmaForLR:21, barrierMfmaIndex:234 */
/*  mfmaIndex:128  */
_ds_load_b64 v[vgprValuB_X1_I0+0:vgprValuB_X1_I0+0+1], v[vgprLocalReadAddrB] offset:96 // L -> Reg lro=48 swapByteOffset=0 ti=32 vIdx=0 rIdx=0 oIdx=0 buffer=1 iui=0
s_waitcnt lgkmcnt(1)                               // lgkmcnt=0 vmcnt=-1wait for prior local read local write old=0, new=1 newLW=0 newLR=1
/* pack scheduling: packAIdx:2, packBIdx:0 */
v_perm_b32 v[vgprValuA_X2_I0+0], v[vgprValuA_X2_I0_D1+0], v[vgprValuA_X2_I0_D0+0], s[sgprPackKForV0] // select K=01 for vector=0
v_perm_b32 v[vgprValuA_X2_I0+1], v[vgprValuA_X2_I0_D3+0], v[vgprValuA_X2_I0_D2+0], s[sgprPackKForV0] // select K=23 for vector=0
v_perm_b32 v[vgprValuA_X2_I0+2], v[vgprValuA_X2_I0_D1+0], v[vgprValuA_X2_I0_D0+0], s[sgprPackKForV1] // select K=01 for vector=1
v_perm_b32 v[vgprValuA_X2_I0+3], v[vgprValuA_X2_I0_D3+0], v[vgprValuA_X2_I0_D2+0], s[sgprPackKForV1] // select K=23 for vector=1
v_mfma_f32_16x16x16_bf16 a[0+0:3+0], v[vgprValuB_X0_I0+0+0+0:vgprValuB_X0_I0+0+0+0+1], v[vgprValuA_X2_I0+0+0+0:vgprValuA_X2_I0+0+0+0+1], a[0:3]
/*  mfmaIndex:129  */
_ds_load_b64 v[vgprValuB_X1_I0+2:vgprValuB_X1_I0+2+1], v[vgprLocalReadAddrB] offset:224 // L -> Reg lro=48 swapByteOffset=0 ti=32 vIdx=0 rIdx=0 oIdx=0 buffer=1 iui=0
/* pack scheduling: packAIdx:4, packBIdx:0 */
v_perm_b32 v[vgprValuA_X2_I0+4], v[vgprValuA_X2_I0_D1+1], v[vgprValuA_X2_I0_D0+1], s[sgprPackKForV0] // select K=01 for vector=0
v_perm_b32 v[vgprValuA_X2_I0+5], v[vgprValuA_X2_I0_D3+1], v[vgprValuA_X2_I0_D2+1], s[sgprPackKForV0] // select K=23 for vector=0
v_mfma_f32_16x16x16_bf16 a[4+0:7+0], v[vgprValuB_X0_I0+0+0+0:vgprValuB_X0_I0+0+0+0+1], v[vgprValuA_X2_I0+2+0+0:vgprValuA_X2_I0+2+0+0+1], a[4:7]
/*  mfmaIndex:130  */
_ds_load_b64 v[vgprValuB_X1_I0+4:vgprValuB_X1_I0+4+1], v[vgprLocalReadAddrB] offset:4320 // L -> Reg lro=48 swapByteOffset=0 ti=32 vIdx=1 rIdx=0 oIdx=0 buffer=1 iui=0
_buffer_load_b64 v[vgprG2LA1+4:vgprG2LA1+4+1], v[vgprGlobalReadOffsetA+2], s[sgprSrdA:sgprSrdA+3], 0, offen offset:0 // G -> Reg 0_0_2_0
/* pack scheduling: packAIdx:6, packBIdx:0 */
v_perm_b32 v[vgprValuA_X2_I0+6], v[vgprValuA_X2_I0_D1+1], v[vgprValuA_X2_I0_D0+1], s[sgprPackKForV1] // select K=01 for vector=1
v_perm_b32 v[vgprValuA_X2_I0+7], v[vgprValuA_X2_I0_D3+1], v[vgprValuA_X2_I0_D2+1], s[sgprPackKForV1] // select K=23 for vector=1
v_mfma_f32_16x16x16_bf16 a[8+0:11+0], v[vgprValuB_X0_I0+0+0+0:vgprValuB_X0_I0+0+0+0+1], v[vgprValuA_X2_I0+4+0+0:vgprValuA_X2_I0+4+0+0+1], a[8:11]
/*  mfmaIndex:131  */
_ds_load_b64 v[vgprValuB_X1_I0+6:vgprValuB_X1_I0+6+1], v[vgprLocalReadAddrB] offset:4448 // L -> Reg lro=48 swapByteOffset=0 ti=32 vIdx=1 rIdx=0 oIdx=0 buffer=1 iui=0
v_mfma_f32_16x16x16_bf16 a[12+0:15+0], v[vgprValuB_X0_I0+0+0+0:vgprValuB_X0_I0+0+0+0+1], v[vgprValuA_X2_I0+6+0+0:vgprValuA_X2_I0+6+0+0+1], a[12:15]
/*  mfmaIndex:132  */
_ds_load_b64 v[vgprValuB_X1_I0+8:vgprValuB_X1_I0+8+1], v[vgprLocalReadAddrB] offset:8544 // L -> Reg lro=48 swapByteOffset=0 ti=32 vIdx=2 rIdx=0 oIdx=0 buffer=1 iui=0
	;; [unrolled: 3-line block ×4, first 2 shown]
_buffer_load_b64 v[vgprG2LA1+6:vgprG2LA1+6+1], v[vgprGlobalReadOffsetA+3], s[sgprSrdA:sgprSrdA+3], 0, offen offset:0 // G -> Reg 0_0_3_0
v_mfma_f32_16x16x16_bf16 a[20+0:23+0], v[vgprValuB_X0_I0+2+0+0:vgprValuB_X0_I0+2+0+0+1], v[vgprValuA_X2_I0+2+0+0:vgprValuA_X2_I0+2+0+0+1], a[20:23]
/*  mfmaIndex:135  */
_ds_load_b64 v[vgprValuB_X1_I0+14:vgprValuB_X1_I0+14+1], v[vgprLocalReadAddrB] offset:12896 // L -> Reg lro=48 swapByteOffset=0 ti=32 vIdx=3 rIdx=0 oIdx=0 buffer=1 iui=0
v_mfma_f32_16x16x16_bf16 a[16+0:19+0], v[vgprValuB_X0_I0+2+0+0:vgprValuB_X0_I0+2+0+0+1], v[vgprValuA_X2_I0+0+0+0:vgprValuA_X2_I0+0+0+0+1], a[16:19]
/*  mfmaIndex:136  */
_ds_load_b64 v[vgprValuB_X1_I0+16:vgprValuB_X1_I0+16+1], v[vgprLocalReadAddrB] offset:16992 // L -> Reg lro=48 swapByteOffset=0 ti=32 vIdx=4 rIdx=0 oIdx=0 buffer=1 iui=0
	;; [unrolled: 3-line block ×4, first 2 shown]
_buffer_load_b64 v[vgprG2LA1+8:vgprG2LA1+8+1], v[vgprGlobalReadOffsetA+4], s[sgprSrdA:sgprSrdA+3], 0, offen offset:0 // G -> Reg 0_0_4_0
v_mfma_f32_16x16x16_bf16 a[40+0:43+0], v[vgprValuB_X0_I0+4+0+0:vgprValuB_X0_I0+4+0+0+1], v[vgprValuA_X2_I0+4+0+0:vgprValuA_X2_I0+4+0+0+1], a[40:43]
/*  mfmaIndex:139  */
_ds_load_b64 v[vgprValuB_X1_I0+22:vgprValuB_X1_I0+22+1], v[vgprLocalReadAddrB] offset:21344 // L -> Reg lro=48 swapByteOffset=0 ti=32 vIdx=5 rIdx=0 oIdx=0 buffer=1 iui=0
v_mfma_f32_16x16x16_bf16 a[44+0:47+0], v[vgprValuB_X0_I0+4+0+0:vgprValuB_X0_I0+4+0+0+1], v[vgprValuA_X2_I0+6+0+0:vgprValuA_X2_I0+6+0+0+1], a[44:47]
/*  mfmaIndex:140  */
_ds_load_b64 v[vgprValuB_X1_I0+24:vgprValuB_X1_I0+24+1], v[vgprLocalReadAddrB] offset:25440 // L -> Reg lro=48 swapByteOffset=0 ti=32 vIdx=6 rIdx=0 oIdx=0 buffer=1 iui=0
	;; [unrolled: 3-line block ×4, first 2 shown]
_buffer_load_b64 v[vgprG2LA1+10:vgprG2LA1+10+1], v[vgprGlobalReadOffsetA+5], s[sgprSrdA:sgprSrdA+3], 0, offen offset:0 // G -> Reg 0_0_5_0
v_mfma_f32_16x16x16_bf16 a[52+0:55+0], v[vgprValuB_X0_I0+6+0+0:vgprValuB_X0_I0+6+0+0+1], v[vgprValuA_X2_I0+2+0+0:vgprValuA_X2_I0+2+0+0+1], a[52:55]
/*  mfmaIndex:143  */
_ds_load_b64 v[vgprValuB_X1_I0+30:vgprValuB_X1_I0+30+1], v[vgprLocalReadAddrB] offset:29792 // L -> Reg lro=48 swapByteOffset=0 ti=32 vIdx=7 rIdx=0 oIdx=0 buffer=1 iui=0
v_mfma_f32_16x16x16_bf16 a[48+0:51+0], v[vgprValuB_X0_I0+6+0+0:vgprValuB_X0_I0+6+0+0+1], v[vgprValuA_X2_I0+0+0+0:vgprValuA_X2_I0+0+0+0+1], a[48:51]
/*  mfmaIndex:144  */
/* localReadsVacancy: latencyLeft 2 */
v_mfma_f32_16x16x16_bf16 a[64+0:67+0], v[vgprValuB_X0_I0+8+0+0:vgprValuB_X0_I0+8+0+0+1], v[vgprValuA_X2_I0+0+0+0:vgprValuA_X2_I0+0+0+0+1], a[64:67]
/*  mfmaIndex:145  */
/* localReadsVacancy: latencyLeft 2 */
	;; [unrolled: 3-line block ×3, first 2 shown]
_buffer_load_b64 v[vgprG2LA1+12:vgprG2LA1+12+1], v[vgprGlobalReadOffsetA+6], s[sgprSrdA:sgprSrdA+3], 0, offen offset:0 // G -> Reg 0_0_6_0
v_mfma_f32_16x16x16_bf16 a[72+0:75+0], v[vgprValuB_X0_I0+8+0+0:vgprValuB_X0_I0+8+0+0+1], v[vgprValuA_X2_I0+4+0+0:vgprValuA_X2_I0+4+0+0+1], a[72:75]
/*  mfmaIndex:147  */
/* localReadsVacancy: latencyLeft 2 */
v_mfma_f32_16x16x16_bf16 a[76+0:79+0], v[vgprValuB_X0_I0+8+0+0:vgprValuB_X0_I0+8+0+0+1], v[vgprValuA_X2_I0+6+0+0:vgprValuA_X2_I0+6+0+0+1], a[76:79]
/*  mfmaIndex:148  */
/* localReadsVacancy: latencyLeft 2 */
	;; [unrolled: 3-line block ×4, first 2 shown]
_buffer_load_b64 v[vgprG2LA1+14:vgprG2LA1+14+1], v[vgprGlobalReadOffsetA+7], s[sgprSrdA:sgprSrdA+3], 0, offen offset:0 // G -> Reg 0_0_7_0
v_mfma_f32_16x16x16_bf16 a[84+0:87+0], v[vgprValuB_X0_I0+10+0+0:vgprValuB_X0_I0+10+0+0+1], v[vgprValuA_X2_I0+2+0+0:vgprValuA_X2_I0+2+0+0+1], a[84:87]
/*  mfmaIndex:151  */
/* localReadsVacancy: latencyLeft 2 */
v_mfma_f32_16x16x16_bf16 a[80+0:83+0], v[vgprValuB_X0_I0+10+0+0:vgprValuB_X0_I0+10+0+0+1], v[vgprValuA_X2_I0+0+0+0:vgprValuA_X2_I0+0+0+0+1], a[80:83]
/*  mfmaIndex:152  */
/* localReadsVacancy: latencyLeft 2 */
	;; [unrolled: 3-line block ×3, first 2 shown]
_buffer_load_b64 v[vgprG2LA1+16:vgprG2LA1+16+1], v[vgprGlobalReadOffsetA+8], s[sgprSrdA:sgprSrdA+3], 0, offen offset:0 // G -> Reg 0_0_8_0
v_mfma_f32_16x16x16_bf16 a[100+0:103+0], v[vgprValuB_X0_I0+12+0+0:vgprValuB_X0_I0+12+0+0+1], v[vgprValuA_X2_I0+2+0+0:vgprValuA_X2_I0+2+0+0+1], a[100:103]
/*  mfmaIndex:154  */
/* localReadsVacancy: latencyLeft 2 */
v_mfma_f32_16x16x16_bf16 a[104+0:107+0], v[vgprValuB_X0_I0+12+0+0:vgprValuB_X0_I0+12+0+0+1], v[vgprValuA_X2_I0+4+0+0:vgprValuA_X2_I0+4+0+0+1], a[104:107]
/*  mfmaIndex:155  */
/* localReadsVacancy: latencyLeft 2 */
	;; [unrolled: 3-line block ×4, first 2 shown]
_buffer_load_b64 v[vgprG2LA1+18:vgprG2LA1+18+1], v[vgprGlobalReadOffsetA+9], s[sgprSrdA:sgprSrdA+3], 0, offen offset:0 // G -> Reg 0_0_9_0
v_mfma_f32_16x16x16_bf16 a[120+0:123+0], v[vgprValuB_X0_I0+14+0+0:vgprValuB_X0_I0+14+0+0+1], v[vgprValuA_X2_I0+4+0+0:vgprValuA_X2_I0+4+0+0+1], a[120:123]
/*  mfmaIndex:158  */
/* localReadsVacancy: latencyLeft 2 */
v_mfma_f32_16x16x16_bf16 a[116+0:119+0], v[vgprValuB_X0_I0+14+0+0:vgprValuB_X0_I0+14+0+0+1], v[vgprValuA_X2_I0+2+0+0:vgprValuA_X2_I0+2+0+0+1], a[116:119]
/*  mfmaIndex:159  */
/* localReadsVacancy: latencyLeft 2 */
	;; [unrolled: 3-line block ×4, first 2 shown]
_buffer_load_b64 v[vgprG2LA1+20:vgprG2LA1+20+1], v[vgprGlobalReadOffsetA+10], s[sgprSrdA:sgprSrdA+3], 0, offen offset:0 // G -> Reg 0_0_10_0
v_mfma_f32_16x16x16_bf16 a[132+0:135+0], v[vgprValuB_X0_I0+16+0+0:vgprValuB_X0_I0+16+0+0+1], v[vgprValuA_X2_I0+2+0+0:vgprValuA_X2_I0+2+0+0+1], a[132:135]
/*  mfmaIndex:162  */
/* localReadsVacancy: latencyLeft 2 */
v_mfma_f32_16x16x16_bf16 a[136+0:139+0], v[vgprValuB_X0_I0+16+0+0:vgprValuB_X0_I0+16+0+0+1], v[vgprValuA_X2_I0+4+0+0:vgprValuA_X2_I0+4+0+0+1], a[136:139]
/*  mfmaIndex:163  */
/* localReadsVacancy: latencyLeft 2 */
	;; [unrolled: 3-line block ×4, first 2 shown]
_buffer_load_b64 v[vgprG2LA1+22:vgprG2LA1+22+1], v[vgprGlobalReadOffsetA+11], s[sgprSrdA:sgprSrdA+3], 0, offen offset:0 // G -> Reg 0_0_11_0
v_mfma_f32_16x16x16_bf16 a[152+0:155+0], v[vgprValuB_X0_I0+18+0+0:vgprValuB_X0_I0+18+0+0+1], v[vgprValuA_X2_I0+4+0+0:vgprValuA_X2_I0+4+0+0+1], a[152:155]
/*  mfmaIndex:166  */
/* localReadsVacancy: latencyLeft 2 */
v_mfma_f32_16x16x16_bf16 a[148+0:151+0], v[vgprValuB_X0_I0+18+0+0:vgprValuB_X0_I0+18+0+0+1], v[vgprValuA_X2_I0+2+0+0:vgprValuA_X2_I0+2+0+0+1], a[148:151]
/*  mfmaIndex:167  */
/* localReadsVacancy: latencyLeft 2 */
	;; [unrolled: 3-line block ×4, first 2 shown]
_buffer_load_b64 v[vgprG2LA1+24:vgprG2LA1+24+1], v[vgprGlobalReadOffsetA+12], s[sgprSrdA:sgprSrdA+3], 0, offen offset:0 // G -> Reg 0_0_12_0
v_mfma_f32_16x16x16_bf16 a[164+0:167+0], v[vgprValuB_X0_I0+20+0+0:vgprValuB_X0_I0+20+0+0+1], v[vgprValuA_X2_I0+2+0+0:vgprValuA_X2_I0+2+0+0+1], a[164:167]
/*  mfmaIndex:170  */
/* localReadsVacancy: latencyLeft 2 */
v_mfma_f32_16x16x16_bf16 a[168+0:171+0], v[vgprValuB_X0_I0+20+0+0:vgprValuB_X0_I0+20+0+0+1], v[vgprValuA_X2_I0+4+0+0:vgprValuA_X2_I0+4+0+0+1], a[168:171]
/*  mfmaIndex:171  */
/* localReadsVacancy: latencyLeft 2 */
	;; [unrolled: 3-line block ×4, first 2 shown]
_buffer_load_b64 v[vgprG2LA1+26:vgprG2LA1+26+1], v[vgprGlobalReadOffsetA+13], s[sgprSrdA:sgprSrdA+3], 0, offen offset:0 // G -> Reg 0_0_13_0
v_mfma_f32_16x16x16_bf16 a[184+0:187+0], v[vgprValuB_X0_I0+22+0+0:vgprValuB_X0_I0+22+0+0+1], v[vgprValuA_X2_I0+4+0+0:vgprValuA_X2_I0+4+0+0+1], a[184:187]
/*  mfmaIndex:174  */
/* localReadsVacancy: latencyLeft 2 */
v_mfma_f32_16x16x16_bf16 a[180+0:183+0], v[vgprValuB_X0_I0+22+0+0:vgprValuB_X0_I0+22+0+0+1], v[vgprValuA_X2_I0+2+0+0:vgprValuA_X2_I0+2+0+0+1], a[180:183]
/*  mfmaIndex:175  */
/* localReadsVacancy: latencyLeft 2 */
	;; [unrolled: 3-line block ×3, first 2 shown]
_buffer_load_b64 v[vgprG2LA1+28:vgprG2LA1+28+1], v[vgprGlobalReadOffsetA+14], s[sgprSrdA:sgprSrdA+3], 0, offen offset:0 // G -> Reg 0_0_14_0
v_mfma_f32_16x16x16_bf16 a[192+0:195+0], v[vgprValuB_X0_I0+24+0+0:vgprValuB_X0_I0+24+0+0+1], v[vgprValuA_X2_I0+0+0+0:vgprValuA_X2_I0+0+0+0+1], a[192:195]
/*  mfmaIndex:177  */
/* localReadsVacancy: latencyLeft 2 */
v_mfma_f32_16x16x16_bf16 a[196+0:199+0], v[vgprValuB_X0_I0+24+0+0:vgprValuB_X0_I0+24+0+0+1], v[vgprValuA_X2_I0+2+0+0:vgprValuA_X2_I0+2+0+0+1], a[196:199]
/*  mfmaIndex:178  */
/* localReadsVacancy: latencyLeft 2 */
	;; [unrolled: 3-line block ×4, first 2 shown]
_buffer_load_b64 v[vgprG2LA1+30:vgprG2LA1+30+1], v[vgprGlobalReadOffsetA+15], s[sgprSrdA:sgprSrdA+3], 0, offen offset:0 // G -> Reg 0_0_15_0
v_mfma_f32_16x16x16_bf16 a[220+0:223+0], v[vgprValuB_X0_I0+26+0+0:vgprValuB_X0_I0+26+0+0+1], v[vgprValuA_X2_I0+6+0+0:vgprValuA_X2_I0+6+0+0+1], a[220:223]
/*  mfmaIndex:181  */
/* localReadsVacancy: latencyLeft 2 */
v_mfma_f32_16x16x16_bf16 a[216+0:219+0], v[vgprValuB_X0_I0+26+0+0:vgprValuB_X0_I0+26+0+0+1], v[vgprValuA_X2_I0+4+0+0:vgprValuA_X2_I0+4+0+0+1], a[216:219]
/*  mfmaIndex:182  */
/* localReadsVacancy: latencyLeft 2 */
v_mfma_f32_16x16x16_bf16 a[212+0:215+0], v[vgprValuB_X0_I0+26+0+0:vgprValuB_X0_I0+26+0+0+1], v[vgprValuA_X2_I0+2+0+0:vgprValuA_X2_I0+2+0+0+1], a[212:215]
/*  mfmaIndex:183  */
/* localReadsVacancy: latencyLeft 2 */
v_mfma_f32_16x16x16_bf16 a[208+0:211+0], v[vgprValuB_X0_I0+26+0+0:vgprValuB_X0_I0+26+0+0+1], v[vgprValuA_X2_I0+0+0+0:vgprValuA_X2_I0+0+0+0+1], a[208:211]
/*  mfmaIndex:184  */
/* localReadsVacancy: latencyLeft 2 */

/* global read inc B loopL */
s_add_u32 s[sgprSrdB+0], s[sgprSrdB+0], s[sgprGlobalReadIncsB+0] // gra SRD += inc(lower)
v_mfma_f32_16x16x16_bf16 a[224+0:227+0], v[vgprValuB_X0_I0+28+0+0:vgprValuB_X0_I0+28+0+0+1], v[vgprValuA_X2_I0+0+0+0:vgprValuA_X2_I0+0+0+0+1], a[224:227]
/*  mfmaIndex:185  */
/* localReadsVacancy: latencyLeft 2 */
s_addc_u32  s[sgprSrdB+1], s[sgprSrdB+1], 0        // gra SRD += inc(upper)
v_mfma_f32_16x16x16_bf16 a[228+0:231+0], v[vgprValuB_X0_I0+28+0+0:vgprValuB_X0_I0+28+0+0+1], v[vgprValuA_X2_I0+2+0+0:vgprValuA_X2_I0+2+0+0+1], a[228:231]
/*  mfmaIndex:186  */
/* localReadsVacancy: latencyLeft 2 */
s_sub_u32 s[sgprShadowLimitB+0], s[sgprShadowLimitB+0], s[sgprGlobalReadIncsB+0] // limit -= inc)
v_mfma_f32_16x16x16_bf16 a[232+0:235+0], v[vgprValuB_X0_I0+28+0+0:vgprValuB_X0_I0+28+0+0+1], v[vgprValuA_X2_I0+4+0+0:vgprValuA_X2_I0+4+0+0+1], a[232:235]
/*  mfmaIndex:187  */
/* localReadsVacancy: latencyLeft 2 */
s_subb_u32 s[sgprShadowLimitB+1], s[sgprShadowLimitB+1], 0 // limit -= inc)
v_mfma_f32_16x16x16_bf16 a[236+0:239+0], v[vgprValuB_X0_I0+28+0+0:vgprValuB_X0_I0+28+0+0+1], v[vgprValuA_X2_I0+6+0+0:vgprValuA_X2_I0+6+0+0+1], a[236:239]
/*  mfmaIndex:188  */
/* localReadsVacancy: latencyLeft 2 */
s_cmp_eq_u32 s[sgprShadowLimitB+1], 0              // are we within 2^32?
v_mfma_f32_16x16x16_bf16 a[252+0:255+0], v[vgprValuB_X0_I0+30+0+0:vgprValuB_X0_I0+30+0+0+1], v[vgprValuA_X2_I0+6+0+0:vgprValuA_X2_I0+6+0+0+1], a[252:255]
/*  mfmaIndex:189  */
/* localReadsVacancy: latencyLeft 2 */
s_cmov_b32 s[sgprSrdB+2], s[sgprShadowLimitB+0]    // Move shadow to real if we are within 2^32
v_mfma_f32_16x16x16_bf16 a[248+0:251+0], v[vgprValuB_X0_I0+30+0+0:vgprValuB_X0_I0+30+0+0+1], v[vgprValuA_X2_I0+4+0+0:vgprValuA_X2_I0+4+0+0+1], a[248:251]
/*  mfmaIndex:190  */
/* localReadsVacancy: latencyLeft 2 */

/* global read inc A loopL */
s_add_u32 s[sgprSrdA+0], s[sgprSrdA+0], s[sgprGlobalReadIncsA+0] // gra SRD += inc(lower)
v_mfma_f32_16x16x16_bf16 a[244+0:247+0], v[vgprValuB_X0_I0+30+0+0:vgprValuB_X0_I0+30+0+0+1], v[vgprValuA_X2_I0+2+0+0:vgprValuA_X2_I0+2+0+0+1], a[244:247]
/*  mfmaIndex:191  */
/* localReadsVacancy: latencyLeft 2 */
s_addc_u32  s[sgprSrdA+1], s[sgprSrdA+1], 0        // gra SRD += inc(upper)

/* local read swap offsets a */

/* local read swap offsets b */

/* local read init pointers a */

/* local read init pointers b */

/* localReadInitPointers */
v_mfma_f32_16x16x16_bf16 a[240+0:243+0], v[vgprValuB_X0_I0+30+0+0:vgprValuB_X0_I0+30+0+0+1], v[vgprValuA_X2_I0+0+0+0:vgprValuA_X2_I0+0+0+0+1], a[240:243]
/* numPrefetchIter=0 */
/* dataAtIterA=1 numReadsIterA=3 skipReadsIterA=1 readsPerIterA=1 */
/* dataAtIterB=1 numReadsIterB=3 skipReadsIterB=1 readsPerIterB=16 */


/* iter 3 (swap and reset local write pointers iteration)  */

s_waitcnt vmcnt(48)                                // lgkmcnt=-1 vmcnt=48global read wait for DirectToVgpr

/*  grEndMfmaIndex:184, lwStartMfmaIndex:197, lwEndMfmaIndex:228  */
/*  numMfmaForLR:21, barrierMfmaIndex:234 */
/*  mfmaIndex:192  */
s_sub_u32 s[sgprShadowLimitA+0], s[sgprShadowLimitA+0], s[sgprGlobalReadIncsA+0] // limit -= inc)
s_waitcnt lgkmcnt(0)                               // lgkmcnt=0 vmcnt=-1wait for prior local read local write old=0, new=0 newLW=0 newLR=0
/* pack scheduling: packAIdx:2, packBIdx:0 */
v_perm_b32 v[vgprValuA_X3_I0+0], v[vgprValuA_X3_I0_D1+0], v[vgprValuA_X3_I0_D0+0], s[sgprPackKForV0] // select K=01 for vector=0
v_perm_b32 v[vgprValuA_X3_I0+1], v[vgprValuA_X3_I0_D3+0], v[vgprValuA_X3_I0_D2+0], s[sgprPackKForV0] // select K=23 for vector=0
v_perm_b32 v[vgprValuA_X3_I0+2], v[vgprValuA_X3_I0_D1+0], v[vgprValuA_X3_I0_D0+0], s[sgprPackKForV1] // select K=01 for vector=1
v_perm_b32 v[vgprValuA_X3_I0+3], v[vgprValuA_X3_I0_D3+0], v[vgprValuA_X3_I0_D2+0], s[sgprPackKForV1] // select K=23 for vector=1
v_mfma_f32_16x16x16_bf16 a[0+0:3+0], v[vgprValuB_X1_I0+0+0+0:vgprValuB_X1_I0+0+0+0+1], v[vgprValuA_X3_I0+0+0+0:vgprValuA_X3_I0+0+0+0+1], a[0:3]
/*  mfmaIndex:193  */
s_subb_u32 s[sgprShadowLimitA+1], s[sgprShadowLimitA+1], 0 // limit -= inc)
/* pack scheduling: packAIdx:4, packBIdx:0 */
v_perm_b32 v[vgprValuA_X3_I0+4], v[vgprValuA_X3_I0_D1+1], v[vgprValuA_X3_I0_D0+1], s[sgprPackKForV0] // select K=01 for vector=0
v_perm_b32 v[vgprValuA_X3_I0+5], v[vgprValuA_X3_I0_D3+1], v[vgprValuA_X3_I0_D2+1], s[sgprPackKForV0] // select K=23 for vector=0
v_mfma_f32_16x16x16_bf16 a[4+0:7+0], v[vgprValuB_X1_I0+0+0+0:vgprValuB_X1_I0+0+0+0+1], v[vgprValuA_X3_I0+2+0+0:vgprValuA_X3_I0+2+0+0+1], a[4:7]
/*  mfmaIndex:194  */
s_cmp_eq_u32 s[sgprShadowLimitA+1], 0              // are we within 2^32?
/* pack scheduling: packAIdx:6, packBIdx:0 */
v_perm_b32 v[vgprValuA_X3_I0+6], v[vgprValuA_X3_I0_D1+1], v[vgprValuA_X3_I0_D0+1], s[sgprPackKForV1] // select K=01 for vector=1
v_perm_b32 v[vgprValuA_X3_I0+7], v[vgprValuA_X3_I0_D3+1], v[vgprValuA_X3_I0_D2+1], s[sgprPackKForV1] // select K=23 for vector=1
v_mfma_f32_16x16x16_bf16 a[8+0:11+0], v[vgprValuB_X1_I0+0+0+0:vgprValuB_X1_I0+0+0+0+1], v[vgprValuA_X3_I0+4+0+0:vgprValuA_X3_I0+4+0+0+1], a[8:11]
/*  mfmaIndex:195  */
s_cmov_b32 s[sgprSrdA+2], s[sgprShadowLimitA+0]    // Move shadow to real if we are within 2^32
v_mfma_f32_16x16x16_bf16 a[12+0:15+0], v[vgprValuB_X1_I0+0+0+0:vgprValuB_X1_I0+0+0+0+1], v[vgprValuA_X3_I0+6+0+0:vgprValuA_X3_I0+6+0+0+1], a[12:15]
/*  mfmaIndex:196  */
/* 1 LDS buffer: read-sync-write */
s_waitcnt lgkmcnt(0)                               // 
s_barrier                                          // 
v_mfma_f32_16x16x16_bf16 a[28+0:31+0], v[vgprValuB_X1_I0+2+0+0:vgprValuB_X1_I0+2+0+0+1], v[vgprValuA_X3_I0+6+0+0:vgprValuA_X3_I0+6+0+0+1], a[28:31]
s_setprio 0                                        // store optimization
/*  mfmaIndex:197  */
/* sched write - iter 3 writesPerItem=1 */
s_waitcnt vmcnt(0)                                 // lgkmcnt=-1 vmcnt=0wait for global read before writing to local
_ds_store_b32 v[vgprLocalWriteAddrB], v[vgprG2LB+0] offset:0 // lwoB_0_0_0_0 = (0*LSCB)*(MT1J+PAD) + (0*LSPB) = 0
v_mfma_f32_16x16x16_bf16 a[24+0:27+0], v[vgprValuB_X1_I0+2+0+0:vgprValuB_X1_I0+2+0+0+1], v[vgprValuA_X3_I0+4+0+0:vgprValuA_X3_I0+4+0+0+1], a[24:27]
/*  mfmaIndex:198  */
/* sched write - iter 3 writesPerItem=1 */
s_waitcnt vmcnt(0)                                 // lgkmcnt=-1 vmcnt=0wait for global read before writing to local
_ds_store_b32 v[vgprLocalWriteAddrB], v[vgprG2LB+1] offset:1056 // lwoB_0_0_1_0 = (0*LSCB)*(MT1J+PAD) + (1*LSPB) = 1056
v_mfma_f32_16x16x16_bf16 a[20+0:23+0], v[vgprValuB_X1_I0+2+0+0:vgprValuB_X1_I0+2+0+0+1], v[vgprValuA_X3_I0+2+0+0:vgprValuA_X3_I0+2+0+0+1], a[20:23]
/*  mfmaIndex:199  */
/* sched write - iter 3 writesPerItem=1 */
s_waitcnt vmcnt(0)                                 // lgkmcnt=-1 vmcnt=0wait for global read before writing to local
_ds_store_b32 v[vgprLocalWriteAddrB], v[vgprG2LB+2] offset:2112 // lwoB_0_0_2_0 = (0*LSCB)*(MT1J+PAD) + (2*LSPB) = 2112
v_mfma_f32_16x16x16_bf16 a[16+0:19+0], v[vgprValuB_X1_I0+2+0+0:vgprValuB_X1_I0+2+0+0+1], v[vgprValuA_X3_I0+0+0+0:vgprValuA_X3_I0+0+0+0+1], a[16:19]
/*  mfmaIndex:200  */
/* sched write - iter 3 writesPerItem=1 */
s_waitcnt vmcnt(0)                                 // lgkmcnt=-1 vmcnt=0wait for global read before writing to local
_ds_store_b32 v[vgprLocalWriteAddrB], v[vgprG2LB+3] offset:3168 // lwoB_0_0_3_0 = (0*LSCB)*(MT1J+PAD) + (3*LSPB) = 3168
v_mfma_f32_16x16x16_bf16 a[32+0:35+0], v[vgprValuB_X1_I0+4+0+0:vgprValuB_X1_I0+4+0+0+1], v[vgprValuA_X3_I0+0+0+0:vgprValuA_X3_I0+0+0+0+1], a[32:35]
/*  mfmaIndex:201  */
/* sched write - iter 3 writesPerItem=1 */
s_waitcnt vmcnt(0)                                 // lgkmcnt=-1 vmcnt=0wait for global read before writing to local
_ds_store_b32 v[vgprLocalWriteAddrB], v[vgprG2LB+4] offset:4224 // lwoB_0_0_4_0 = (0*LSCB)*(MT1J+PAD) + (4*LSPB) = 4224
v_mfma_f32_16x16x16_bf16 a[36+0:39+0], v[vgprValuB_X1_I0+4+0+0:vgprValuB_X1_I0+4+0+0+1], v[vgprValuA_X3_I0+2+0+0:vgprValuA_X3_I0+2+0+0+1], a[36:39]
/*  mfmaIndex:202  */
/* sched write - iter 3 writesPerItem=1 */
s_waitcnt vmcnt(0)                                 // lgkmcnt=-1 vmcnt=0wait for global read before writing to local
_ds_store_b32 v[vgprLocalWriteAddrB], v[vgprG2LB+5] offset:5280 // lwoB_0_0_5_0 = (0*LSCB)*(MT1J+PAD) + (5*LSPB) = 5280
v_mfma_f32_16x16x16_bf16 a[40+0:43+0], v[vgprValuB_X1_I0+4+0+0:vgprValuB_X1_I0+4+0+0+1], v[vgprValuA_X3_I0+4+0+0:vgprValuA_X3_I0+4+0+0+1], a[40:43]
/*  mfmaIndex:203  */
/* sched write - iter 3 writesPerItem=1 */
s_waitcnt vmcnt(0)                                 // lgkmcnt=-1 vmcnt=0wait for global read before writing to local
_ds_store_b32 v[vgprLocalWriteAddrB], v[vgprG2LB+6] offset:6336 // lwoB_0_0_6_0 = (0*LSCB)*(MT1J+PAD) + (6*LSPB) = 6336
v_mfma_f32_16x16x16_bf16 a[44+0:47+0], v[vgprValuB_X1_I0+4+0+0:vgprValuB_X1_I0+4+0+0+1], v[vgprValuA_X3_I0+6+0+0:vgprValuA_X3_I0+6+0+0+1], a[44:47]
/*  mfmaIndex:204  */
/* sched write - iter 3 writesPerItem=1 */
s_waitcnt vmcnt(0)                                 // lgkmcnt=-1 vmcnt=0wait for global read before writing to local
_ds_store_b32 v[vgprLocalWriteAddrB], v[vgprG2LB+7] offset:7392 // lwoB_0_0_7_0 = (0*LSCB)*(MT1J+PAD) + (7*LSPB) = 7392
v_mfma_f32_16x16x16_bf16 a[60+0:63+0], v[vgprValuB_X1_I0+6+0+0:vgprValuB_X1_I0+6+0+0+1], v[vgprValuA_X3_I0+6+0+0:vgprValuA_X3_I0+6+0+0+1], a[60:63]
/*  mfmaIndex:205  */
/* sched write - iter 3 writesPerItem=1 */
s_waitcnt vmcnt(0)                                 // lgkmcnt=-1 vmcnt=0wait for global read before writing to local
_ds_store_b32 v[vgprLocalWriteAddrB], v[vgprG2LB+8] offset:8448 // lwoB_0_0_8_0 = (0*LSCB)*(MT1J+PAD) + (8*LSPB) = 8448
v_mfma_f32_16x16x16_bf16 a[56+0:59+0], v[vgprValuB_X1_I0+6+0+0:vgprValuB_X1_I0+6+0+0+1], v[vgprValuA_X3_I0+4+0+0:vgprValuA_X3_I0+4+0+0+1], a[56:59]
/*  mfmaIndex:206  */
/* sched write - iter 3 writesPerItem=1 */
s_waitcnt vmcnt(0)                                 // lgkmcnt=-1 vmcnt=0wait for global read before writing to local
_ds_store_b32 v[vgprLocalWriteAddrB], v[vgprG2LB+9] offset:9504 // lwoB_0_0_9_0 = (0*LSCB)*(MT1J+PAD) + (9*LSPB) = 9504
v_mfma_f32_16x16x16_bf16 a[52+0:55+0], v[vgprValuB_X1_I0+6+0+0:vgprValuB_X1_I0+6+0+0+1], v[vgprValuA_X3_I0+2+0+0:vgprValuA_X3_I0+2+0+0+1], a[52:55]
/*  mfmaIndex:207  */
/* sched write - iter 3 writesPerItem=1 */
s_waitcnt vmcnt(0)                                 // lgkmcnt=-1 vmcnt=0wait for global read before writing to local
_ds_store_b32 v[vgprLocalWriteAddrB], v[vgprG2LB+10] offset:10560 // lwoB_0_0_10_0 = (0*LSCB)*(MT1J+PAD) + (10*LSPB) = 10560
v_mfma_f32_16x16x16_bf16 a[48+0:51+0], v[vgprValuB_X1_I0+6+0+0:vgprValuB_X1_I0+6+0+0+1], v[vgprValuA_X3_I0+0+0+0:vgprValuA_X3_I0+0+0+0+1], a[48:51]
/*  mfmaIndex:208  */
/* sched write - iter 3 writesPerItem=1 */
s_waitcnt vmcnt(0)                                 // lgkmcnt=-1 vmcnt=0wait for global read before writing to local
_ds_store_b32 v[vgprLocalWriteAddrB], v[vgprG2LB+11] offset:11616 // lwoB_0_0_11_0 = (0*LSCB)*(MT1J+PAD) + (11*LSPB) = 11616
v_mfma_f32_16x16x16_bf16 a[64+0:67+0], v[vgprValuB_X1_I0+8+0+0:vgprValuB_X1_I0+8+0+0+1], v[vgprValuA_X3_I0+0+0+0:vgprValuA_X3_I0+0+0+0+1], a[64:67]
/*  mfmaIndex:209  */
/* sched write - iter 3 writesPerItem=1 */
s_waitcnt vmcnt(0)                                 // lgkmcnt=-1 vmcnt=0wait for global read before writing to local
_ds_store_b32 v[vgprLocalWriteAddrB], v[vgprG2LB+12] offset:12672 // lwoB_0_0_12_0 = (0*LSCB)*(MT1J+PAD) + (12*LSPB) = 12672
v_mfma_f32_16x16x16_bf16 a[68+0:71+0], v[vgprValuB_X1_I0+8+0+0:vgprValuB_X1_I0+8+0+0+1], v[vgprValuA_X3_I0+2+0+0:vgprValuA_X3_I0+2+0+0+1], a[68:71]
/*  mfmaIndex:210  */
/* sched write - iter 3 writesPerItem=1 */
s_waitcnt vmcnt(0)                                 // lgkmcnt=-1 vmcnt=0wait for global read before writing to local
_ds_store_b32 v[vgprLocalWriteAddrB], v[vgprG2LB+13] offset:13728 // lwoB_0_0_13_0 = (0*LSCB)*(MT1J+PAD) + (13*LSPB) = 13728
v_mfma_f32_16x16x16_bf16 a[72+0:75+0], v[vgprValuB_X1_I0+8+0+0:vgprValuB_X1_I0+8+0+0+1], v[vgprValuA_X3_I0+4+0+0:vgprValuA_X3_I0+4+0+0+1], a[72:75]
/*  mfmaIndex:211  */
/* sched write - iter 3 writesPerItem=1 */
s_waitcnt vmcnt(0)                                 // lgkmcnt=-1 vmcnt=0wait for global read before writing to local
_ds_store_b32 v[vgprLocalWriteAddrB], v[vgprG2LB+14] offset:14784 // lwoB_0_0_14_0 = (0*LSCB)*(MT1J+PAD) + (14*LSPB) = 14784
v_mfma_f32_16x16x16_bf16 a[76+0:79+0], v[vgprValuB_X1_I0+8+0+0:vgprValuB_X1_I0+8+0+0+1], v[vgprValuA_X3_I0+6+0+0:vgprValuA_X3_I0+6+0+0+1], a[76:79]
/*  mfmaIndex:212  */
/* sched write - iter 3 writesPerItem=1 */
s_waitcnt vmcnt(0)                                 // lgkmcnt=-1 vmcnt=0wait for global read before writing to local
_ds_store_b32 v[vgprLocalWriteAddrB], v[vgprG2LB+15] offset:15840 // lwoB_0_0_15_0 = (0*LSCB)*(MT1J+PAD) + (15*LSPB) = 15840
v_mfma_f32_16x16x16_bf16 a[92+0:95+0], v[vgprValuB_X1_I0+10+0+0:vgprValuB_X1_I0+10+0+0+1], v[vgprValuA_X3_I0+6+0+0:vgprValuA_X3_I0+6+0+0+1], a[92:95]
/*  mfmaIndex:213  */
/* sched write - iter 3 writesPerItem=1 */
s_waitcnt vmcnt(0)                                 // lgkmcnt=-1 vmcnt=0wait for global read before writing to local
_ds_store_b32 v[vgprLocalWriteAddrB], v[vgprG2LB+16] offset:16896 // lwoB_0_0_16_0 = (0*LSCB)*(MT1J+PAD) + (16*LSPB) = 16896
v_mfma_f32_16x16x16_bf16 a[88+0:91+0], v[vgprValuB_X1_I0+10+0+0:vgprValuB_X1_I0+10+0+0+1], v[vgprValuA_X3_I0+4+0+0:vgprValuA_X3_I0+4+0+0+1], a[88:91]
/*  mfmaIndex:214  */
/* sched write - iter 3 writesPerItem=1 */
s_waitcnt vmcnt(0)                                 // lgkmcnt=-1 vmcnt=0wait for global read before writing to local
_ds_store_b32 v[vgprLocalWriteAddrB], v[vgprG2LB+17] offset:17952 // lwoB_0_0_17_0 = (0*LSCB)*(MT1J+PAD) + (17*LSPB) = 17952
v_mfma_f32_16x16x16_bf16 a[84+0:87+0], v[vgprValuB_X1_I0+10+0+0:vgprValuB_X1_I0+10+0+0+1], v[vgprValuA_X3_I0+2+0+0:vgprValuA_X3_I0+2+0+0+1], a[84:87]
/*  mfmaIndex:215  */
/* sched write - iter 3 writesPerItem=1 */
s_waitcnt vmcnt(0)                                 // lgkmcnt=-1 vmcnt=0wait for global read before writing to local
_ds_store_b32 v[vgprLocalWriteAddrB], v[vgprG2LB+18] offset:19008 // lwoB_0_0_18_0 = (0*LSCB)*(MT1J+PAD) + (18*LSPB) = 19008
v_mfma_f32_16x16x16_bf16 a[80+0:83+0], v[vgprValuB_X1_I0+10+0+0:vgprValuB_X1_I0+10+0+0+1], v[vgprValuA_X3_I0+0+0+0:vgprValuA_X3_I0+0+0+0+1], a[80:83]
/*  mfmaIndex:216  */
/* sched write - iter 3 writesPerItem=1 */
s_waitcnt vmcnt(0)                                 // lgkmcnt=-1 vmcnt=0wait for global read before writing to local
_ds_store_b32 v[vgprLocalWriteAddrB], v[vgprG2LB+19] offset:20064 // lwoB_0_0_19_0 = (0*LSCB)*(MT1J+PAD) + (19*LSPB) = 20064
v_mfma_f32_16x16x16_bf16 a[96+0:99+0], v[vgprValuB_X1_I0+12+0+0:vgprValuB_X1_I0+12+0+0+1], v[vgprValuA_X3_I0+0+0+0:vgprValuA_X3_I0+0+0+0+1], a[96:99]
/*  mfmaIndex:217  */
/* sched write - iter 3 writesPerItem=1 */
s_waitcnt vmcnt(0)                                 // lgkmcnt=-1 vmcnt=0wait for global read before writing to local
_ds_store_b32 v[vgprLocalWriteAddrB], v[vgprG2LB+20] offset:21120 // lwoB_0_0_20_0 = (0*LSCB)*(MT1J+PAD) + (20*LSPB) = 21120
v_mfma_f32_16x16x16_bf16 a[100+0:103+0], v[vgprValuB_X1_I0+12+0+0:vgprValuB_X1_I0+12+0+0+1], v[vgprValuA_X3_I0+2+0+0:vgprValuA_X3_I0+2+0+0+1], a[100:103]
/*  mfmaIndex:218  */
/* sched write - iter 3 writesPerItem=1 */
s_waitcnt vmcnt(0)                                 // lgkmcnt=-1 vmcnt=0wait for global read before writing to local
_ds_store_b32 v[vgprLocalWriteAddrB], v[vgprG2LB+21] offset:22176 // lwoB_0_0_21_0 = (0*LSCB)*(MT1J+PAD) + (21*LSPB) = 22176
v_mfma_f32_16x16x16_bf16 a[104+0:107+0], v[vgprValuB_X1_I0+12+0+0:vgprValuB_X1_I0+12+0+0+1], v[vgprValuA_X3_I0+4+0+0:vgprValuA_X3_I0+4+0+0+1], a[104:107]
/*  mfmaIndex:219  */
/* sched write - iter 3 writesPerItem=1 */
s_waitcnt vmcnt(0)                                 // lgkmcnt=-1 vmcnt=0wait for global read before writing to local
_ds_store_b32 v[vgprLocalWriteAddrB], v[vgprG2LB+22] offset:23232 // lwoB_0_0_22_0 = (0*LSCB)*(MT1J+PAD) + (22*LSPB) = 23232
v_mfma_f32_16x16x16_bf16 a[108+0:111+0], v[vgprValuB_X1_I0+12+0+0:vgprValuB_X1_I0+12+0+0+1], v[vgprValuA_X3_I0+6+0+0:vgprValuA_X3_I0+6+0+0+1], a[108:111]
/*  mfmaIndex:220  */
/* sched write - iter 3 writesPerItem=1 */
s_waitcnt vmcnt(0)                                 // lgkmcnt=-1 vmcnt=0wait for global read before writing to local
_ds_store_b32 v[vgprLocalWriteAddrB], v[vgprG2LB+23] offset:24288 // lwoB_0_0_23_0 = (0*LSCB)*(MT1J+PAD) + (23*LSPB) = 24288
v_mfma_f32_16x16x16_bf16 a[124+0:127+0], v[vgprValuB_X1_I0+14+0+0:vgprValuB_X1_I0+14+0+0+1], v[vgprValuA_X3_I0+6+0+0:vgprValuA_X3_I0+6+0+0+1], a[124:127]
/*  mfmaIndex:221  */
/* sched write - iter 3 writesPerItem=1 */
s_waitcnt vmcnt(0)                                 // lgkmcnt=-1 vmcnt=0wait for global read before writing to local
_ds_store_b32 v[vgprLocalWriteAddrB], v[vgprG2LB+24] offset:25344 // lwoB_0_0_24_0 = (0*LSCB)*(MT1J+PAD) + (24*LSPB) = 25344
v_mfma_f32_16x16x16_bf16 a[120+0:123+0], v[vgprValuB_X1_I0+14+0+0:vgprValuB_X1_I0+14+0+0+1], v[vgprValuA_X3_I0+4+0+0:vgprValuA_X3_I0+4+0+0+1], a[120:123]
/*  mfmaIndex:222  */
/* sched write - iter 3 writesPerItem=1 */
s_waitcnt vmcnt(0)                                 // lgkmcnt=-1 vmcnt=0wait for global read before writing to local
_ds_store_b32 v[vgprLocalWriteAddrB], v[vgprG2LB+25] offset:26400 // lwoB_0_0_25_0 = (0*LSCB)*(MT1J+PAD) + (25*LSPB) = 26400
v_mfma_f32_16x16x16_bf16 a[116+0:119+0], v[vgprValuB_X1_I0+14+0+0:vgprValuB_X1_I0+14+0+0+1], v[vgprValuA_X3_I0+2+0+0:vgprValuA_X3_I0+2+0+0+1], a[116:119]
/*  mfmaIndex:223  */
/* sched write - iter 3 writesPerItem=1 */
s_waitcnt vmcnt(0)                                 // lgkmcnt=-1 vmcnt=0wait for global read before writing to local
_ds_store_b32 v[vgprLocalWriteAddrB], v[vgprG2LB+26] offset:27456 // lwoB_0_0_26_0 = (0*LSCB)*(MT1J+PAD) + (26*LSPB) = 27456
v_mfma_f32_16x16x16_bf16 a[112+0:115+0], v[vgprValuB_X1_I0+14+0+0:vgprValuB_X1_I0+14+0+0+1], v[vgprValuA_X3_I0+0+0+0:vgprValuA_X3_I0+0+0+0+1], a[112:115]
/*  mfmaIndex:224  */
/* sched write - iter 3 writesPerItem=1 */
s_waitcnt vmcnt(0)                                 // lgkmcnt=-1 vmcnt=0wait for global read before writing to local
_ds_store_b32 v[vgprLocalWriteAddrB], v[vgprG2LB+27] offset:28512 // lwoB_0_0_27_0 = (0*LSCB)*(MT1J+PAD) + (27*LSPB) = 28512
v_mfma_f32_16x16x16_bf16 a[128+0:131+0], v[vgprValuB_X1_I0+16+0+0:vgprValuB_X1_I0+16+0+0+1], v[vgprValuA_X3_I0+0+0+0:vgprValuA_X3_I0+0+0+0+1], a[128:131]
/*  mfmaIndex:225  */
/* sched write - iter 3 writesPerItem=1 */
s_waitcnt vmcnt(0)                                 // lgkmcnt=-1 vmcnt=0wait for global read before writing to local
_ds_store_b32 v[vgprLocalWriteAddrB], v[vgprG2LB+28] offset:29568 // lwoB_0_0_28_0 = (0*LSCB)*(MT1J+PAD) + (28*LSPB) = 29568
v_mfma_f32_16x16x16_bf16 a[132+0:135+0], v[vgprValuB_X1_I0+16+0+0:vgprValuB_X1_I0+16+0+0+1], v[vgprValuA_X3_I0+2+0+0:vgprValuA_X3_I0+2+0+0+1], a[132:135]
/*  mfmaIndex:226  */
/* sched write - iter 3 writesPerItem=1 */
s_waitcnt vmcnt(0)                                 // lgkmcnt=-1 vmcnt=0wait for global read before writing to local
_ds_store_b32 v[vgprLocalWriteAddrB], v[vgprG2LB+29] offset:30624 // lwoB_0_0_29_0 = (0*LSCB)*(MT1J+PAD) + (29*LSPB) = 30624
v_mfma_f32_16x16x16_bf16 a[136+0:139+0], v[vgprValuB_X1_I0+16+0+0:vgprValuB_X1_I0+16+0+0+1], v[vgprValuA_X3_I0+4+0+0:vgprValuA_X3_I0+4+0+0+1], a[136:139]
/*  mfmaIndex:227  */
/* sched write - iter 3 writesPerItem=1 */
s_waitcnt vmcnt(0)                                 // lgkmcnt=-1 vmcnt=0wait for global read before writing to local
_ds_store_b32 v[vgprLocalWriteAddrB], v[vgprG2LB+30] offset:31680 // lwoB_0_0_30_0 = (0*LSCB)*(MT1J+PAD) + (30*LSPB) = 31680
v_mfma_f32_16x16x16_bf16 a[140+0:143+0], v[vgprValuB_X1_I0+16+0+0:vgprValuB_X1_I0+16+0+0+1], v[vgprValuA_X3_I0+6+0+0:vgprValuA_X3_I0+6+0+0+1], a[140:143]
/*  mfmaIndex:228  */
/* sched write - iter 3 writesPerItem=1 */
s_waitcnt vmcnt(0)                                 // lgkmcnt=-1 vmcnt=0wait for global read before writing to local
_ds_store_b32 v[vgprLocalWriteAddrB], v[vgprG2LB+31] offset:32736 // lwoB_0_0_31_0 = (0*LSCB)*(MT1J+PAD) + (31*LSPB) = 32736

/* local write swap offsets a */

/* local write swap offsets b */
v_mfma_f32_16x16x16_bf16 a[156+0:159+0], v[vgprValuB_X1_I0+18+0+0:vgprValuB_X1_I0+18+0+0+1], v[vgprValuA_X3_I0+6+0+0:vgprValuA_X3_I0+6+0+0+1], a[156:159]
/*  mfmaIndex:229  */
v_mfma_f32_16x16x16_bf16 a[152+0:155+0], v[vgprValuB_X1_I0+18+0+0:vgprValuB_X1_I0+18+0+0+1], v[vgprValuA_X3_I0+4+0+0:vgprValuA_X3_I0+4+0+0+1], a[152:155]
/*  mfmaIndex:230  */
	;; [unrolled: 2-line block ×6, first 2 shown]
s_waitcnt lgkmcnt(0)                               // lgkmcnt=0 vmcnt=-13wait for local write
s_barrier
v_mfma_f32_16x16x16_bf16 a[168+0:171+0], v[vgprValuB_X1_I0+20+0+0:vgprValuB_X1_I0+20+0+0+1], v[vgprValuA_X3_I0+4+0+0:vgprValuA_X3_I0+4+0+0+1], a[168:171]
/*  mfmaIndex:235  */
s_setprio 3                                        // store optimization
_ds_load_b64 v[vgprValuB_X0_I0+0:vgprValuB_X0_I0+0+1], v[vgprLocalReadAddrB] offset:0 // L -> Reg lro=0 swapByteOffset=0 ti=32 vIdx=0 rIdx=0 oIdx=0 buffer=0 iui=0
v_mfma_f32_16x16x16_bf16 a[172+0:175+0], v[vgprValuB_X1_I0+20+0+0:vgprValuB_X1_I0+20+0+0+1], v[vgprValuA_X3_I0+6+0+0:vgprValuA_X3_I0+6+0+0+1], a[172:175]
/*  mfmaIndex:236  */
_ds_load_b64 v[vgprValuB_X0_I0+2:vgprValuB_X0_I0+2+1], v[vgprLocalReadAddrB] offset:128 // L -> Reg lro=0 swapByteOffset=0 ti=32 vIdx=0 rIdx=0 oIdx=0 buffer=0 iui=0
v_mfma_f32_16x16x16_bf16 a[188+0:191+0], v[vgprValuB_X1_I0+22+0+0:vgprValuB_X1_I0+22+0+0+1], v[vgprValuA_X3_I0+6+0+0:vgprValuA_X3_I0+6+0+0+1], a[188:191]
/*  mfmaIndex:237  */
	;; [unrolled: 3-line block ×16, first 2 shown]
v_mfma_f32_16x16x16_bf16 a[236+0:239+0], v[vgprValuB_X1_I0+28+0+0:vgprValuB_X1_I0+28+0+0+1], v[vgprValuA_X3_I0+6+0+0:vgprValuA_X3_I0+6+0+0+1], a[236:239]
/*  mfmaIndex:252  */
v_mfma_f32_16x16x16_bf16 a[252+0:255+0], v[vgprValuB_X1_I0+30+0+0:vgprValuB_X1_I0+30+0+0+1], v[vgprValuA_X3_I0+6+0+0:vgprValuA_X3_I0+6+0+0+1], a[252:255]
/*  mfmaIndex:253  */
	;; [unrolled: 2-line block ×4, first 2 shown]
v_mfma_f32_16x16x16_bf16 a[240+0:243+0], v[vgprValuB_X1_I0+30+0+0:vgprValuB_X1_I0+30+0+0+1], v[vgprValuA_X3_I0+0+0+0:vgprValuA_X3_I0+0+0+0+1], a[240:243]
s_setprio 0                                        // store optimization
/* numPrefetchIter=1 */
/* dataAtIterA=2 numReadsIterA=3 skipReadsIterA=1 readsPerIterA=1 */
/* dataAtIterB=2 numReadsIterB=3 skipReadsIterB=1 readsPerIterB=16 */


/******************************************/
/* Unrolled Loop - End 1/2                */
/******************************************/


/* closeLoop loopL finalLoop=0 tailLoop=0 */
s_sub_u32 s[sgprLoopCounterL], s[sgprLoopCounterL], 1 // dec counterL
s_cmp_eq_i32 s[sgprLoopCounterL], 0x1              // counterL==1
s_cbranch_scc1 LoopEndL_oddexit_3                  // exit LoopL


/******************************************/
/* Unrolled Loop 2/2 - Begin              */
/******************************************/

label_0014: // LoopCopy2 


/* Begin Each Unroll: Check VGPR.checkin for INT8 LW */


	;; [unrolled: 1-line block ×3, first 2 shown]
/* iter 0 */

s_waitcnt vmcnt(12)                                // lgkmcnt=-1 vmcnt=12global read wait for DirectToVgpr

/*  grEndMfmaIndex:184, lwStartMfmaIndex:197, lwEndMfmaIndex:228  */
/*  numMfmaForLR:21, barrierMfmaIndex:234 */
/*  mfmaIndex:0  */
_buffer_load_b32 v[vgprG2LB+0], v[vgprGlobalReadOffsetB+0], s[sgprSrdB:sgprSrdB+3], 0, offen offset:0 // G -> Reg 0_0_0_0
s_waitcnt lgkmcnt(0)                               // lgkmcnt=0 vmcnt=-1wait for prior local read local write old=0, new=0 newLW=0 newLR=0
/* pack scheduling: packAIdx:2, packBIdx:0 */
v_perm_b32 v[vgprValuA_X4_I0+0], v[vgprValuA_X4_I0_D1+0], v[vgprValuA_X4_I0_D0+0], s[sgprPackKForV0] // select K=01 for vector=0
v_perm_b32 v[vgprValuA_X4_I0+1], v[vgprValuA_X4_I0_D3+0], v[vgprValuA_X4_I0_D2+0], s[sgprPackKForV0] // select K=23 for vector=0
v_perm_b32 v[vgprValuA_X4_I0+2], v[vgprValuA_X4_I0_D1+0], v[vgprValuA_X4_I0_D0+0], s[sgprPackKForV1] // select K=01 for vector=1
v_perm_b32 v[vgprValuA_X4_I0+3], v[vgprValuA_X4_I0_D3+0], v[vgprValuA_X4_I0_D2+0], s[sgprPackKForV1] // select K=23 for vector=1
v_mfma_f32_16x16x16_bf16 a[0+0:3+0], v[vgprValuB_X0_I0+0+0+0:vgprValuB_X0_I0+0+0+0+1], v[vgprValuA_X4_I0+0+0+0:vgprValuA_X4_I0+0+0+0+1], a[0:3]
/*  mfmaIndex:1  */
_ds_load_b64 v[vgprValuB_X1_I0+0:vgprValuB_X1_I0+0+1], v[vgprLocalReadAddrB] offset:32 // L -> Reg lro=16 swapByteOffset=0 ti=32 vIdx=0 rIdx=0 oIdx=0 buffer=1 iui=0
s_setprio 3                                        // store optimization
/* pack scheduling: packAIdx:4, packBIdx:0 */
v_perm_b32 v[vgprValuA_X4_I0+4], v[vgprValuA_X4_I0_D1+1], v[vgprValuA_X4_I0_D0+1], s[sgprPackKForV0] // select K=01 for vector=0
v_perm_b32 v[vgprValuA_X4_I0+5], v[vgprValuA_X4_I0_D3+1], v[vgprValuA_X4_I0_D2+1], s[sgprPackKForV0] // select K=23 for vector=0
v_mfma_f32_16x16x16_bf16 a[4+0:7+0], v[vgprValuB_X0_I0+0+0+0:vgprValuB_X0_I0+0+0+0+1], v[vgprValuA_X4_I0+2+0+0:vgprValuA_X4_I0+2+0+0+1], a[4:7]
/*  mfmaIndex:2  */
_ds_load_b64 v[vgprValuB_X1_I0+2:vgprValuB_X1_I0+2+1], v[vgprLocalReadAddrB] offset:160 // L -> Reg lro=16 swapByteOffset=0 ti=32 vIdx=0 rIdx=0 oIdx=0 buffer=1 iui=0
/* pack scheduling: packAIdx:6, packBIdx:0 */
v_perm_b32 v[vgprValuA_X4_I0+6], v[vgprValuA_X4_I0_D1+1], v[vgprValuA_X4_I0_D0+1], s[sgprPackKForV1] // select K=01 for vector=1
v_perm_b32 v[vgprValuA_X4_I0+7], v[vgprValuA_X4_I0_D3+1], v[vgprValuA_X4_I0_D2+1], s[sgprPackKForV1] // select K=23 for vector=1
v_mfma_f32_16x16x16_bf16 a[8+0:11+0], v[vgprValuB_X0_I0+0+0+0:vgprValuB_X0_I0+0+0+0+1], v[vgprValuA_X4_I0+4+0+0:vgprValuA_X4_I0+4+0+0+1], a[8:11]
/*  mfmaIndex:3  */
_ds_load_b64 v[vgprValuB_X1_I0+4:vgprValuB_X1_I0+4+1], v[vgprLocalReadAddrB] offset:4256 // L -> Reg lro=16 swapByteOffset=0 ti=32 vIdx=1 rIdx=0 oIdx=0 buffer=1 iui=0
_buffer_load_b32 v[vgprG2LB+1], v[vgprGlobalReadOffsetB+1], s[sgprSrdB:sgprSrdB+3], 0, offen offset:0 // G -> Reg 0_0_1_0
v_mfma_f32_16x16x16_bf16 a[12+0:15+0], v[vgprValuB_X0_I0+0+0+0:vgprValuB_X0_I0+0+0+0+1], v[vgprValuA_X4_I0+6+0+0:vgprValuA_X4_I0+6+0+0+1], a[12:15]
/*  mfmaIndex:4  */
_ds_load_b64 v[vgprValuB_X1_I0+6:vgprValuB_X1_I0+6+1], v[vgprLocalReadAddrB] offset:4384 // L -> Reg lro=16 swapByteOffset=0 ti=32 vIdx=1 rIdx=0 oIdx=0 buffer=1 iui=0
v_mfma_f32_16x16x16_bf16 a[28+0:31+0], v[vgprValuB_X0_I0+2+0+0:vgprValuB_X0_I0+2+0+0+1], v[vgprValuA_X4_I0+6+0+0:vgprValuA_X4_I0+6+0+0+1], a[28:31]
/*  mfmaIndex:5  */
_ds_load_b64 v[vgprValuB_X1_I0+8:vgprValuB_X1_I0+8+1], v[vgprLocalReadAddrB] offset:8480 // L -> Reg lro=16 swapByteOffset=0 ti=32 vIdx=2 rIdx=0 oIdx=0 buffer=1 iui=0
	;; [unrolled: 3-line block ×4, first 2 shown]
_buffer_load_b32 v[vgprG2LB+2], v[vgprGlobalReadOffsetB+2], s[sgprSrdB:sgprSrdB+3], 0, offen offset:0 // G -> Reg 0_0_2_0
v_mfma_f32_16x16x16_bf16 a[16+0:19+0], v[vgprValuB_X0_I0+2+0+0:vgprValuB_X0_I0+2+0+0+1], v[vgprValuA_X4_I0+0+0+0:vgprValuA_X4_I0+0+0+0+1], a[16:19]
/*  mfmaIndex:8  */
_ds_load_b64 v[vgprValuB_X1_I0+14:vgprValuB_X1_I0+14+1], v[vgprLocalReadAddrB] offset:12832 // L -> Reg lro=16 swapByteOffset=0 ti=32 vIdx=3 rIdx=0 oIdx=0 buffer=1 iui=0
v_mfma_f32_16x16x16_bf16 a[32+0:35+0], v[vgprValuB_X0_I0+4+0+0:vgprValuB_X0_I0+4+0+0+1], v[vgprValuA_X4_I0+0+0+0:vgprValuA_X4_I0+0+0+0+1], a[32:35]
/*  mfmaIndex:9  */
_ds_load_b64 v[vgprValuB_X1_I0+16:vgprValuB_X1_I0+16+1], v[vgprLocalReadAddrB] offset:16928 // L -> Reg lro=16 swapByteOffset=0 ti=32 vIdx=4 rIdx=0 oIdx=0 buffer=1 iui=0
	;; [unrolled: 3-line block ×4, first 2 shown]
_buffer_load_b32 v[vgprG2LB+3], v[vgprGlobalReadOffsetB+3], s[sgprSrdB:sgprSrdB+3], 0, offen offset:0 // G -> Reg 0_0_3_0
v_mfma_f32_16x16x16_bf16 a[44+0:47+0], v[vgprValuB_X0_I0+4+0+0:vgprValuB_X0_I0+4+0+0+1], v[vgprValuA_X4_I0+6+0+0:vgprValuA_X4_I0+6+0+0+1], a[44:47]
/*  mfmaIndex:12  */
_ds_load_b64 v[vgprValuB_X1_I0+22:vgprValuB_X1_I0+22+1], v[vgprLocalReadAddrB] offset:21280 // L -> Reg lro=16 swapByteOffset=0 ti=32 vIdx=5 rIdx=0 oIdx=0 buffer=1 iui=0
v_mfma_f32_16x16x16_bf16 a[60+0:63+0], v[vgprValuB_X0_I0+6+0+0:vgprValuB_X0_I0+6+0+0+1], v[vgprValuA_X4_I0+6+0+0:vgprValuA_X4_I0+6+0+0+1], a[60:63]
/*  mfmaIndex:13  */
_ds_load_b64 v[vgprValuB_X1_I0+24:vgprValuB_X1_I0+24+1], v[vgprLocalReadAddrB] offset:25376 // L -> Reg lro=16 swapByteOffset=0 ti=32 vIdx=6 rIdx=0 oIdx=0 buffer=1 iui=0
	;; [unrolled: 3-line block ×4, first 2 shown]
_buffer_load_b32 v[vgprG2LB+4], v[vgprGlobalReadOffsetB+4], s[sgprSrdB:sgprSrdB+3], 0, offen offset:0 // G -> Reg 0_0_4_0
v_mfma_f32_16x16x16_bf16 a[48+0:51+0], v[vgprValuB_X0_I0+6+0+0:vgprValuB_X0_I0+6+0+0+1], v[vgprValuA_X4_I0+0+0+0:vgprValuA_X4_I0+0+0+0+1], a[48:51]
/*  mfmaIndex:16  */
_ds_load_b64 v[vgprValuB_X1_I0+30:vgprValuB_X1_I0+30+1], v[vgprLocalReadAddrB] offset:29728 // L -> Reg lro=16 swapByteOffset=0 ti=32 vIdx=7 rIdx=0 oIdx=0 buffer=1 iui=0
v_mfma_f32_16x16x16_bf16 a[64+0:67+0], v[vgprValuB_X0_I0+8+0+0:vgprValuB_X0_I0+8+0+0+1], v[vgprValuA_X4_I0+0+0+0:vgprValuA_X4_I0+0+0+0+1], a[64:67]
/*  mfmaIndex:17  */
/* localReadsVacancy: latencyLeft 2 */
v_mfma_f32_16x16x16_bf16 a[68+0:71+0], v[vgprValuB_X0_I0+8+0+0:vgprValuB_X0_I0+8+0+0+1], v[vgprValuA_X4_I0+2+0+0:vgprValuA_X4_I0+2+0+0+1], a[68:71]
/*  mfmaIndex:18  */
/* localReadsVacancy: latencyLeft 2 */
	;; [unrolled: 3-line block ×3, first 2 shown]
_buffer_load_b32 v[vgprG2LB+5], v[vgprGlobalReadOffsetB+5], s[sgprSrdB:sgprSrdB+3], 0, offen offset:0 // G -> Reg 0_0_5_0
v_mfma_f32_16x16x16_bf16 a[76+0:79+0], v[vgprValuB_X0_I0+8+0+0:vgprValuB_X0_I0+8+0+0+1], v[vgprValuA_X4_I0+6+0+0:vgprValuA_X4_I0+6+0+0+1], a[76:79]
/*  mfmaIndex:20  */
/* localReadsVacancy: latencyLeft 2 */
v_mfma_f32_16x16x16_bf16 a[92+0:95+0], v[vgprValuB_X0_I0+10+0+0:vgprValuB_X0_I0+10+0+0+1], v[vgprValuA_X4_I0+6+0+0:vgprValuA_X4_I0+6+0+0+1], a[92:95]
/*  mfmaIndex:21  */
/* localReadsVacancy: latencyLeft 2 */
	;; [unrolled: 3-line block ×4, first 2 shown]
_buffer_load_b32 v[vgprG2LB+6], v[vgprGlobalReadOffsetB+6], s[sgprSrdB:sgprSrdB+3], 0, offen offset:0 // G -> Reg 0_0_6_0
v_mfma_f32_16x16x16_bf16 a[80+0:83+0], v[vgprValuB_X0_I0+10+0+0:vgprValuB_X0_I0+10+0+0+1], v[vgprValuA_X4_I0+0+0+0:vgprValuA_X4_I0+0+0+0+1], a[80:83]
/*  mfmaIndex:24  */
/* localReadsVacancy: latencyLeft 2 */
v_mfma_f32_16x16x16_bf16 a[96+0:99+0], v[vgprValuB_X0_I0+12+0+0:vgprValuB_X0_I0+12+0+0+1], v[vgprValuA_X4_I0+0+0+0:vgprValuA_X4_I0+0+0+0+1], a[96:99]
/*  mfmaIndex:25  */
/* localReadsVacancy: latencyLeft 2 */
	;; [unrolled: 3-line block ×3, first 2 shown]
_buffer_load_b32 v[vgprG2LB+7], v[vgprGlobalReadOffsetB+7], s[sgprSrdB:sgprSrdB+3], 0, offen offset:0 // G -> Reg 0_0_7_0
v_mfma_f32_16x16x16_bf16 a[104+0:107+0], v[vgprValuB_X0_I0+12+0+0:vgprValuB_X0_I0+12+0+0+1], v[vgprValuA_X4_I0+4+0+0:vgprValuA_X4_I0+4+0+0+1], a[104:107]
/*  mfmaIndex:27  */
/* localReadsVacancy: latencyLeft 2 */
v_mfma_f32_16x16x16_bf16 a[108+0:111+0], v[vgprValuB_X0_I0+12+0+0:vgprValuB_X0_I0+12+0+0+1], v[vgprValuA_X4_I0+6+0+0:vgprValuA_X4_I0+6+0+0+1], a[108:111]
/*  mfmaIndex:28  */
/* localReadsVacancy: latencyLeft 2 */
	;; [unrolled: 3-line block ×4, first 2 shown]
_buffer_load_b32 v[vgprG2LB+8], v[vgprGlobalReadOffsetB+8], s[sgprSrdB:sgprSrdB+3], 0, offen offset:0 // G -> Reg 0_0_8_0
v_mfma_f32_16x16x16_bf16 a[116+0:119+0], v[vgprValuB_X0_I0+14+0+0:vgprValuB_X0_I0+14+0+0+1], v[vgprValuA_X4_I0+2+0+0:vgprValuA_X4_I0+2+0+0+1], a[116:119]
/*  mfmaIndex:31  */
/* localReadsVacancy: latencyLeft 2 */
v_mfma_f32_16x16x16_bf16 a[112+0:115+0], v[vgprValuB_X0_I0+14+0+0:vgprValuB_X0_I0+14+0+0+1], v[vgprValuA_X4_I0+0+0+0:vgprValuA_X4_I0+0+0+0+1], a[112:115]
/*  mfmaIndex:32  */
/* localReadsVacancy: latencyLeft 2 */
	;; [unrolled: 3-line block ×4, first 2 shown]
_buffer_load_b32 v[vgprG2LB+9], v[vgprGlobalReadOffsetB+9], s[sgprSrdB:sgprSrdB+3], 0, offen offset:0 // G -> Reg 0_0_9_0
v_mfma_f32_16x16x16_bf16 a[136+0:139+0], v[vgprValuB_X0_I0+16+0+0:vgprValuB_X0_I0+16+0+0+1], v[vgprValuA_X4_I0+4+0+0:vgprValuA_X4_I0+4+0+0+1], a[136:139]
/*  mfmaIndex:35  */
/* localReadsVacancy: latencyLeft 2 */
v_mfma_f32_16x16x16_bf16 a[140+0:143+0], v[vgprValuB_X0_I0+16+0+0:vgprValuB_X0_I0+16+0+0+1], v[vgprValuA_X4_I0+6+0+0:vgprValuA_X4_I0+6+0+0+1], a[140:143]
/*  mfmaIndex:36  */
/* localReadsVacancy: latencyLeft 2 */
v_mfma_f32_16x16x16_bf16 a[156+0:159+0], v[vgprValuB_X0_I0+18+0+0:vgprValuB_X0_I0+18+0+0+1], v[vgprValuA_X4_I0+6+0+0:vgprValuA_X4_I0+6+0+0+1], a[156:159]
/*  mfmaIndex:37  */
/* localReadsVacancy: latencyLeft 2 */
v_mfma_f32_16x16x16_bf16 a[152+0:155+0], v[vgprValuB_X0_I0+18+0+0:vgprValuB_X0_I0+18+0+0+1], v[vgprValuA_X4_I0+4+0+0:vgprValuA_X4_I0+4+0+0+1], a[152:155]
/*  mfmaIndex:38  */
/* localReadsVacancy: latencyLeft 2 */
_buffer_load_b32 v[vgprG2LB+10], v[vgprGlobalReadOffsetB+10], s[sgprSrdB:sgprSrdB+3], 0, offen offset:0 // G -> Reg 0_0_10_0
v_mfma_f32_16x16x16_bf16 a[148+0:151+0], v[vgprValuB_X0_I0+18+0+0:vgprValuB_X0_I0+18+0+0+1], v[vgprValuA_X4_I0+2+0+0:vgprValuA_X4_I0+2+0+0+1], a[148:151]
/*  mfmaIndex:39  */
/* localReadsVacancy: latencyLeft 2 */
v_mfma_f32_16x16x16_bf16 a[144+0:147+0], v[vgprValuB_X0_I0+18+0+0:vgprValuB_X0_I0+18+0+0+1], v[vgprValuA_X4_I0+0+0+0:vgprValuA_X4_I0+0+0+0+1], a[144:147]
/*  mfmaIndex:40  */
/* localReadsVacancy: latencyLeft 2 */
	;; [unrolled: 3-line block ×4, first 2 shown]
_buffer_load_b32 v[vgprG2LB+11], v[vgprGlobalReadOffsetB+11], s[sgprSrdB:sgprSrdB+3], 0, offen offset:0 // G -> Reg 0_0_11_0
v_mfma_f32_16x16x16_bf16 a[168+0:171+0], v[vgprValuB_X0_I0+20+0+0:vgprValuB_X0_I0+20+0+0+1], v[vgprValuA_X4_I0+4+0+0:vgprValuA_X4_I0+4+0+0+1], a[168:171]
/*  mfmaIndex:43  */
/* localReadsVacancy: latencyLeft 2 */
v_mfma_f32_16x16x16_bf16 a[172+0:175+0], v[vgprValuB_X0_I0+20+0+0:vgprValuB_X0_I0+20+0+0+1], v[vgprValuA_X4_I0+6+0+0:vgprValuA_X4_I0+6+0+0+1], a[172:175]
/*  mfmaIndex:44  */
/* localReadsVacancy: latencyLeft 2 */
	;; [unrolled: 3-line block ×4, first 2 shown]
_buffer_load_b32 v[vgprG2LB+12], v[vgprGlobalReadOffsetB+12], s[sgprSrdB:sgprSrdB+3], 0, offen offset:0 // G -> Reg 0_0_12_0
v_mfma_f32_16x16x16_bf16 a[180+0:183+0], v[vgprValuB_X0_I0+22+0+0:vgprValuB_X0_I0+22+0+0+1], v[vgprValuA_X4_I0+2+0+0:vgprValuA_X4_I0+2+0+0+1], a[180:183]
/*  mfmaIndex:47  */
/* localReadsVacancy: latencyLeft 2 */
v_mfma_f32_16x16x16_bf16 a[176+0:179+0], v[vgprValuB_X0_I0+22+0+0:vgprValuB_X0_I0+22+0+0+1], v[vgprValuA_X4_I0+0+0+0:vgprValuA_X4_I0+0+0+0+1], a[176:179]
/*  mfmaIndex:48  */
/* localReadsVacancy: latencyLeft 2 */
	;; [unrolled: 3-line block ×4, first 2 shown]
_buffer_load_b32 v[vgprG2LB+13], v[vgprGlobalReadOffsetB+13], s[sgprSrdB:sgprSrdB+3], 0, offen offset:0 // G -> Reg 0_0_13_0
v_mfma_f32_16x16x16_bf16 a[200+0:203+0], v[vgprValuB_X0_I0+24+0+0:vgprValuB_X0_I0+24+0+0+1], v[vgprValuA_X4_I0+4+0+0:vgprValuA_X4_I0+4+0+0+1], a[200:203]
/*  mfmaIndex:51  */
/* localReadsVacancy: latencyLeft 2 */
v_mfma_f32_16x16x16_bf16 a[204+0:207+0], v[vgprValuB_X0_I0+24+0+0:vgprValuB_X0_I0+24+0+0+1], v[vgprValuA_X4_I0+6+0+0:vgprValuA_X4_I0+6+0+0+1], a[204:207]
/*  mfmaIndex:52  */
/* localReadsVacancy: latencyLeft 2 */
	;; [unrolled: 3-line block ×3, first 2 shown]
_buffer_load_b32 v[vgprG2LB+14], v[vgprGlobalReadOffsetB+14], s[sgprSrdB:sgprSrdB+3], 0, offen offset:0 // G -> Reg 0_0_14_0
v_mfma_f32_16x16x16_bf16 a[216+0:219+0], v[vgprValuB_X0_I0+26+0+0:vgprValuB_X0_I0+26+0+0+1], v[vgprValuA_X4_I0+4+0+0:vgprValuA_X4_I0+4+0+0+1], a[216:219]
/*  mfmaIndex:54  */
/* localReadsVacancy: latencyLeft 2 */
v_mfma_f32_16x16x16_bf16 a[212+0:215+0], v[vgprValuB_X0_I0+26+0+0:vgprValuB_X0_I0+26+0+0+1], v[vgprValuA_X4_I0+2+0+0:vgprValuA_X4_I0+2+0+0+1], a[212:215]
/*  mfmaIndex:55  */
/* localReadsVacancy: latencyLeft 2 */
	;; [unrolled: 3-line block ×4, first 2 shown]
_buffer_load_b32 v[vgprG2LB+15], v[vgprGlobalReadOffsetB+15], s[sgprSrdB:sgprSrdB+3], 0, offen offset:0 // G -> Reg 0_0_15_0
v_mfma_f32_16x16x16_bf16 a[228+0:231+0], v[vgprValuB_X0_I0+28+0+0:vgprValuB_X0_I0+28+0+0+1], v[vgprValuA_X4_I0+2+0+0:vgprValuA_X4_I0+2+0+0+1], a[228:231]
/*  mfmaIndex:58  */
/* localReadsVacancy: latencyLeft 2 */
v_mfma_f32_16x16x16_bf16 a[232+0:235+0], v[vgprValuB_X0_I0+28+0+0:vgprValuB_X0_I0+28+0+0+1], v[vgprValuA_X4_I0+4+0+0:vgprValuA_X4_I0+4+0+0+1], a[232:235]
/*  mfmaIndex:59  */
/* localReadsVacancy: latencyLeft 2 */
	;; [unrolled: 3-line block ×4, first 2 shown]
_buffer_load_b32 v[vgprG2LB+16], v[vgprGlobalReadOffsetB+16], s[sgprSrdB:sgprSrdB+3], 0, offen offset:0 // G -> Reg 0_0_16_0
v_mfma_f32_16x16x16_bf16 a[248+0:251+0], v[vgprValuB_X0_I0+30+0+0:vgprValuB_X0_I0+30+0+0+1], v[vgprValuA_X4_I0+4+0+0:vgprValuA_X4_I0+4+0+0+1], a[248:251]
/*  mfmaIndex:62  */
/* localReadsVacancy: latencyLeft 2 */
v_mfma_f32_16x16x16_bf16 a[244+0:247+0], v[vgprValuB_X0_I0+30+0+0:vgprValuB_X0_I0+30+0+0+1], v[vgprValuA_X4_I0+2+0+0:vgprValuA_X4_I0+2+0+0+1], a[244:247]
/*  mfmaIndex:63  */
/* localReadsVacancy: latencyLeft 2 */
v_mfma_f32_16x16x16_bf16 a[240+0:243+0], v[vgprValuB_X0_I0+30+0+0:vgprValuB_X0_I0+30+0+0+1], v[vgprValuA_X4_I0+0+0+0:vgprValuA_X4_I0+0+0+0+1], a[240:243]
/* numPrefetchIter=0 */
/* dataAtIterA=-1 numReadsIterA=1 skipReadsIterA=1 readsPerIterA=1 */
/* dataAtIterB=-1 numReadsIterB=1 skipReadsIterB=1 readsPerIterB=16 */


/* iter 1 */

s_waitcnt vmcnt(25)                                // lgkmcnt=-1 vmcnt=25global read wait for DirectToVgpr

/*  grEndMfmaIndex:184, lwStartMfmaIndex:197, lwEndMfmaIndex:228  */
/*  numMfmaForLR:21, barrierMfmaIndex:234 */
/*  mfmaIndex:64  */
_ds_load_b64 v[vgprValuB_X0_I0+0:vgprValuB_X0_I0+0+1], v[vgprLocalReadAddrB] offset:64 // L -> Reg lro=32 swapByteOffset=0 ti=32 vIdx=0 rIdx=0 oIdx=0 buffer=0 iui=0
s_waitcnt lgkmcnt(1)                               // lgkmcnt=0 vmcnt=-1wait for prior local read local write old=0, new=1 newLW=0 newLR=1
/* pack scheduling: packAIdx:2, packBIdx:0 */
v_perm_b32 v[vgprValuA_X5_I0+0], v[vgprValuA_X5_I0_D1+0], v[vgprValuA_X5_I0_D0+0], s[sgprPackKForV0] // select K=01 for vector=0
v_perm_b32 v[vgprValuA_X5_I0+1], v[vgprValuA_X5_I0_D3+0], v[vgprValuA_X5_I0_D2+0], s[sgprPackKForV0] // select K=23 for vector=0
v_perm_b32 v[vgprValuA_X5_I0+2], v[vgprValuA_X5_I0_D1+0], v[vgprValuA_X5_I0_D0+0], s[sgprPackKForV1] // select K=01 for vector=1
v_perm_b32 v[vgprValuA_X5_I0+3], v[vgprValuA_X5_I0_D3+0], v[vgprValuA_X5_I0_D2+0], s[sgprPackKForV1] // select K=23 for vector=1
v_mfma_f32_16x16x16_bf16 a[0+0:3+0], v[vgprValuB_X1_I0+0+0+0:vgprValuB_X1_I0+0+0+0+1], v[vgprValuA_X5_I0+0+0+0:vgprValuA_X5_I0+0+0+0+1], a[0:3]
/*  mfmaIndex:65  */
_ds_load_b64 v[vgprValuB_X0_I0+2:vgprValuB_X0_I0+2+1], v[vgprLocalReadAddrB] offset:192 // L -> Reg lro=32 swapByteOffset=0 ti=32 vIdx=0 rIdx=0 oIdx=0 buffer=0 iui=0
_buffer_load_b32 v[vgprG2LB+17], v[vgprGlobalReadOffsetB+17], s[sgprSrdB:sgprSrdB+3], 0, offen offset:0 // G -> Reg 0_0_17_0
/* pack scheduling: packAIdx:4, packBIdx:0 */
v_perm_b32 v[vgprValuA_X5_I0+4], v[vgprValuA_X5_I0_D1+1], v[vgprValuA_X5_I0_D0+1], s[sgprPackKForV0] // select K=01 for vector=0
v_perm_b32 v[vgprValuA_X5_I0+5], v[vgprValuA_X5_I0_D3+1], v[vgprValuA_X5_I0_D2+1], s[sgprPackKForV0] // select K=23 for vector=0
v_mfma_f32_16x16x16_bf16 a[4+0:7+0], v[vgprValuB_X1_I0+0+0+0:vgprValuB_X1_I0+0+0+0+1], v[vgprValuA_X5_I0+2+0+0:vgprValuA_X5_I0+2+0+0+1], a[4:7]
/*  mfmaIndex:66  */
_ds_load_b64 v[vgprValuB_X0_I0+4:vgprValuB_X0_I0+4+1], v[vgprLocalReadAddrB] offset:4288 // L -> Reg lro=32 swapByteOffset=0 ti=32 vIdx=1 rIdx=0 oIdx=0 buffer=0 iui=0
/* pack scheduling: packAIdx:6, packBIdx:0 */
v_perm_b32 v[vgprValuA_X5_I0+6], v[vgprValuA_X5_I0_D1+1], v[vgprValuA_X5_I0_D0+1], s[sgprPackKForV1] // select K=01 for vector=1
v_perm_b32 v[vgprValuA_X5_I0+7], v[vgprValuA_X5_I0_D3+1], v[vgprValuA_X5_I0_D2+1], s[sgprPackKForV1] // select K=23 for vector=1
v_mfma_f32_16x16x16_bf16 a[8+0:11+0], v[vgprValuB_X1_I0+0+0+0:vgprValuB_X1_I0+0+0+0+1], v[vgprValuA_X5_I0+4+0+0:vgprValuA_X5_I0+4+0+0+1], a[8:11]
/*  mfmaIndex:67  */
_ds_load_b64 v[vgprValuB_X0_I0+6:vgprValuB_X0_I0+6+1], v[vgprLocalReadAddrB] offset:4416 // L -> Reg lro=32 swapByteOffset=0 ti=32 vIdx=1 rIdx=0 oIdx=0 buffer=0 iui=0
v_mfma_f32_16x16x16_bf16 a[12+0:15+0], v[vgprValuB_X1_I0+0+0+0:vgprValuB_X1_I0+0+0+0+1], v[vgprValuA_X5_I0+6+0+0:vgprValuA_X5_I0+6+0+0+1], a[12:15]
/*  mfmaIndex:68  */
_ds_load_b64 v[vgprValuB_X0_I0+8:vgprValuB_X0_I0+8+1], v[vgprLocalReadAddrB] offset:8512 // L -> Reg lro=32 swapByteOffset=0 ti=32 vIdx=2 rIdx=0 oIdx=0 buffer=0 iui=0
	;; [unrolled: 3-line block ×3, first 2 shown]
_buffer_load_b32 v[vgprG2LB+18], v[vgprGlobalReadOffsetB+18], s[sgprSrdB:sgprSrdB+3], 0, offen offset:0 // G -> Reg 0_0_18_0
v_mfma_f32_16x16x16_bf16 a[24+0:27+0], v[vgprValuB_X1_I0+2+0+0:vgprValuB_X1_I0+2+0+0+1], v[vgprValuA_X5_I0+4+0+0:vgprValuA_X5_I0+4+0+0+1], a[24:27]
/*  mfmaIndex:70  */
_ds_load_b64 v[vgprValuB_X0_I0+12:vgprValuB_X0_I0+12+1], v[vgprLocalReadAddrB] offset:12736 // L -> Reg lro=32 swapByteOffset=0 ti=32 vIdx=3 rIdx=0 oIdx=0 buffer=0 iui=0
v_mfma_f32_16x16x16_bf16 a[20+0:23+0], v[vgprValuB_X1_I0+2+0+0:vgprValuB_X1_I0+2+0+0+1], v[vgprValuA_X5_I0+2+0+0:vgprValuA_X5_I0+2+0+0+1], a[20:23]
/*  mfmaIndex:71  */
_ds_load_b64 v[vgprValuB_X0_I0+14:vgprValuB_X0_I0+14+1], v[vgprLocalReadAddrB] offset:12864 // L -> Reg lro=32 swapByteOffset=0 ti=32 vIdx=3 rIdx=0 oIdx=0 buffer=0 iui=0
	;; [unrolled: 3-line block ×4, first 2 shown]
_buffer_load_b32 v[vgprG2LB+19], v[vgprGlobalReadOffsetB+19], s[sgprSrdB:sgprSrdB+3], 0, offen offset:0 // G -> Reg 0_0_19_0
v_mfma_f32_16x16x16_bf16 a[36+0:39+0], v[vgprValuB_X1_I0+4+0+0:vgprValuB_X1_I0+4+0+0+1], v[vgprValuA_X5_I0+2+0+0:vgprValuA_X5_I0+2+0+0+1], a[36:39]
/*  mfmaIndex:74  */
_ds_load_b64 v[vgprValuB_X0_I0+20:vgprValuB_X0_I0+20+1], v[vgprLocalReadAddrB] offset:21184 // L -> Reg lro=32 swapByteOffset=0 ti=32 vIdx=5 rIdx=0 oIdx=0 buffer=0 iui=0
v_mfma_f32_16x16x16_bf16 a[40+0:43+0], v[vgprValuB_X1_I0+4+0+0:vgprValuB_X1_I0+4+0+0+1], v[vgprValuA_X5_I0+4+0+0:vgprValuA_X5_I0+4+0+0+1], a[40:43]
/*  mfmaIndex:75  */
_ds_load_b64 v[vgprValuB_X0_I0+22:vgprValuB_X0_I0+22+1], v[vgprLocalReadAddrB] offset:21312 // L -> Reg lro=32 swapByteOffset=0 ti=32 vIdx=5 rIdx=0 oIdx=0 buffer=0 iui=0
v_mfma_f32_16x16x16_bf16 a[44+0:47+0], v[vgprValuB_X1_I0+4+0+0:vgprValuB_X1_I0+4+0+0+1], v[vgprValuA_X5_I0+6+0+0:vgprValuA_X5_I0+6+0+0+1], a[44:47]
/*  mfmaIndex:76  */
_ds_load_b64 v[vgprValuB_X0_I0+24:vgprValuB_X0_I0+24+1], v[vgprLocalReadAddrB] offset:25408 // L -> Reg lro=32 swapByteOffset=0 ti=32 vIdx=6 rIdx=0 oIdx=0 buffer=0 iui=0
_buffer_load_b32 v[vgprG2LB+20], v[vgprGlobalReadOffsetB+20], s[sgprSrdB:sgprSrdB+3], 0, offen offset:0 // G -> Reg 0_0_20_0
v_mfma_f32_16x16x16_bf16 a[60+0:63+0], v[vgprValuB_X1_I0+6+0+0:vgprValuB_X1_I0+6+0+0+1], v[vgprValuA_X5_I0+6+0+0:vgprValuA_X5_I0+6+0+0+1], a[60:63]
/*  mfmaIndex:77  */
_ds_load_b64 v[vgprValuB_X0_I0+26:vgprValuB_X0_I0+26+1], v[vgprLocalReadAddrB] offset:25536 // L -> Reg lro=32 swapByteOffset=0 ti=32 vIdx=6 rIdx=0 oIdx=0 buffer=0 iui=0
v_mfma_f32_16x16x16_bf16 a[56+0:59+0], v[vgprValuB_X1_I0+6+0+0:vgprValuB_X1_I0+6+0+0+1], v[vgprValuA_X5_I0+4+0+0:vgprValuA_X5_I0+4+0+0+1], a[56:59]
/*  mfmaIndex:78  */
_ds_load_b64 v[vgprValuB_X0_I0+28:vgprValuB_X0_I0+28+1], v[vgprLocalReadAddrB] offset:29632 // L -> Reg lro=32 swapByteOffset=0 ti=32 vIdx=7 rIdx=0 oIdx=0 buffer=0 iui=0
	;; [unrolled: 3-line block ×3, first 2 shown]
v_mfma_f32_16x16x16_bf16 a[48+0:51+0], v[vgprValuB_X1_I0+6+0+0:vgprValuB_X1_I0+6+0+0+1], v[vgprValuA_X5_I0+0+0+0:vgprValuA_X5_I0+0+0+0+1], a[48:51]
/*  mfmaIndex:80  */
/* localReadsVacancy: latencyLeft 2 */
_buffer_load_b32 v[vgprG2LB+21], v[vgprGlobalReadOffsetB+21], s[sgprSrdB:sgprSrdB+3], 0, offen offset:0 // G -> Reg 0_0_21_0
v_mfma_f32_16x16x16_bf16 a[64+0:67+0], v[vgprValuB_X1_I0+8+0+0:vgprValuB_X1_I0+8+0+0+1], v[vgprValuA_X5_I0+0+0+0:vgprValuA_X5_I0+0+0+0+1], a[64:67]
/*  mfmaIndex:81  */
/* localReadsVacancy: latencyLeft 2 */
v_mfma_f32_16x16x16_bf16 a[68+0:71+0], v[vgprValuB_X1_I0+8+0+0:vgprValuB_X1_I0+8+0+0+1], v[vgprValuA_X5_I0+2+0+0:vgprValuA_X5_I0+2+0+0+1], a[68:71]
/*  mfmaIndex:82  */
/* localReadsVacancy: latencyLeft 2 */
v_mfma_f32_16x16x16_bf16 a[72+0:75+0], v[vgprValuB_X1_I0+8+0+0:vgprValuB_X1_I0+8+0+0+1], v[vgprValuA_X5_I0+4+0+0:vgprValuA_X5_I0+4+0+0+1], a[72:75]
/*  mfmaIndex:83  */
/* localReadsVacancy: latencyLeft 2 */
v_mfma_f32_16x16x16_bf16 a[76+0:79+0], v[vgprValuB_X1_I0+8+0+0:vgprValuB_X1_I0+8+0+0+1], v[vgprValuA_X5_I0+6+0+0:vgprValuA_X5_I0+6+0+0+1], a[76:79]
/*  mfmaIndex:84  */
/* localReadsVacancy: latencyLeft 2 */
_buffer_load_b32 v[vgprG2LB+22], v[vgprGlobalReadOffsetB+22], s[sgprSrdB:sgprSrdB+3], 0, offen offset:0 // G -> Reg 0_0_22_0
v_mfma_f32_16x16x16_bf16 a[92+0:95+0], v[vgprValuB_X1_I0+10+0+0:vgprValuB_X1_I0+10+0+0+1], v[vgprValuA_X5_I0+6+0+0:vgprValuA_X5_I0+6+0+0+1], a[92:95]
/*  mfmaIndex:85  */
/* localReadsVacancy: latencyLeft 2 */
v_mfma_f32_16x16x16_bf16 a[88+0:91+0], v[vgprValuB_X1_I0+10+0+0:vgprValuB_X1_I0+10+0+0+1], v[vgprValuA_X5_I0+4+0+0:vgprValuA_X5_I0+4+0+0+1], a[88:91]
/*  mfmaIndex:86  */
/* localReadsVacancy: latencyLeft 2 */
	;; [unrolled: 3-line block ×4, first 2 shown]
_buffer_load_b32 v[vgprG2LB+23], v[vgprGlobalReadOffsetB+23], s[sgprSrdB:sgprSrdB+3], 0, offen offset:0 // G -> Reg 0_0_23_0
v_mfma_f32_16x16x16_bf16 a[96+0:99+0], v[vgprValuB_X1_I0+12+0+0:vgprValuB_X1_I0+12+0+0+1], v[vgprValuA_X5_I0+0+0+0:vgprValuA_X5_I0+0+0+0+1], a[96:99]
/*  mfmaIndex:89  */
/* localReadsVacancy: latencyLeft 2 */
v_mfma_f32_16x16x16_bf16 a[100+0:103+0], v[vgprValuB_X1_I0+12+0+0:vgprValuB_X1_I0+12+0+0+1], v[vgprValuA_X5_I0+2+0+0:vgprValuA_X5_I0+2+0+0+1], a[100:103]
/*  mfmaIndex:90  */
/* localReadsVacancy: latencyLeft 2 */
	;; [unrolled: 3-line block ×4, first 2 shown]
_buffer_load_b32 v[vgprG2LB+24], v[vgprGlobalReadOffsetB+24], s[sgprSrdB:sgprSrdB+3], 0, offen offset:0 // G -> Reg 0_0_24_0
v_mfma_f32_16x16x16_bf16 a[124+0:127+0], v[vgprValuB_X1_I0+14+0+0:vgprValuB_X1_I0+14+0+0+1], v[vgprValuA_X5_I0+6+0+0:vgprValuA_X5_I0+6+0+0+1], a[124:127]
/*  mfmaIndex:93  */
/* localReadsVacancy: latencyLeft 2 */
v_mfma_f32_16x16x16_bf16 a[120+0:123+0], v[vgprValuB_X1_I0+14+0+0:vgprValuB_X1_I0+14+0+0+1], v[vgprValuA_X5_I0+4+0+0:vgprValuA_X5_I0+4+0+0+1], a[120:123]
/*  mfmaIndex:94  */
/* localReadsVacancy: latencyLeft 2 */
v_mfma_f32_16x16x16_bf16 a[116+0:119+0], v[vgprValuB_X1_I0+14+0+0:vgprValuB_X1_I0+14+0+0+1], v[vgprValuA_X5_I0+2+0+0:vgprValuA_X5_I0+2+0+0+1], a[116:119]
/*  mfmaIndex:95  */
/* localReadsVacancy: latencyLeft 2 */
v_mfma_f32_16x16x16_bf16 a[112+0:115+0], v[vgprValuB_X1_I0+14+0+0:vgprValuB_X1_I0+14+0+0+1], v[vgprValuA_X5_I0+0+0+0:vgprValuA_X5_I0+0+0+0+1], a[112:115]
/*  mfmaIndex:96  */
/* localReadsVacancy: latencyLeft 2 */
_buffer_load_b32 v[vgprG2LB+25], v[vgprGlobalReadOffsetB+25], s[sgprSrdB:sgprSrdB+3], 0, offen offset:0 // G -> Reg 0_0_25_0
v_mfma_f32_16x16x16_bf16 a[128+0:131+0], v[vgprValuB_X1_I0+16+0+0:vgprValuB_X1_I0+16+0+0+1], v[vgprValuA_X5_I0+0+0+0:vgprValuA_X5_I0+0+0+0+1], a[128:131]
/*  mfmaIndex:97  */
/* localReadsVacancy: latencyLeft 2 */
v_mfma_f32_16x16x16_bf16 a[132+0:135+0], v[vgprValuB_X1_I0+16+0+0:vgprValuB_X1_I0+16+0+0+1], v[vgprValuA_X5_I0+2+0+0:vgprValuA_X5_I0+2+0+0+1], a[132:135]
/*  mfmaIndex:98  */
/* localReadsVacancy: latencyLeft 2 */
	;; [unrolled: 3-line block ×4, first 2 shown]
_buffer_load_b32 v[vgprG2LB+26], v[vgprGlobalReadOffsetB+26], s[sgprSrdB:sgprSrdB+3], 0, offen offset:0 // G -> Reg 0_0_26_0
v_mfma_f32_16x16x16_bf16 a[156+0:159+0], v[vgprValuB_X1_I0+18+0+0:vgprValuB_X1_I0+18+0+0+1], v[vgprValuA_X5_I0+6+0+0:vgprValuA_X5_I0+6+0+0+1], a[156:159]
/*  mfmaIndex:101  */
/* localReadsVacancy: latencyLeft 2 */
v_mfma_f32_16x16x16_bf16 a[152+0:155+0], v[vgprValuB_X1_I0+18+0+0:vgprValuB_X1_I0+18+0+0+1], v[vgprValuA_X5_I0+4+0+0:vgprValuA_X5_I0+4+0+0+1], a[152:155]
/*  mfmaIndex:102  */
/* localReadsVacancy: latencyLeft 2 */
	;; [unrolled: 3-line block ×3, first 2 shown]
_buffer_load_b32 v[vgprG2LB+27], v[vgprGlobalReadOffsetB+27], s[sgprSrdB:sgprSrdB+3], 0, offen offset:0 // G -> Reg 0_0_27_0
v_mfma_f32_16x16x16_bf16 a[144+0:147+0], v[vgprValuB_X1_I0+18+0+0:vgprValuB_X1_I0+18+0+0+1], v[vgprValuA_X5_I0+0+0+0:vgprValuA_X5_I0+0+0+0+1], a[144:147]
/*  mfmaIndex:104  */
/* localReadsVacancy: latencyLeft 2 */
v_mfma_f32_16x16x16_bf16 a[160+0:163+0], v[vgprValuB_X1_I0+20+0+0:vgprValuB_X1_I0+20+0+0+1], v[vgprValuA_X5_I0+0+0+0:vgprValuA_X5_I0+0+0+0+1], a[160:163]
/*  mfmaIndex:105  */
/* localReadsVacancy: latencyLeft 2 */
	;; [unrolled: 3-line block ×4, first 2 shown]
_buffer_load_b32 v[vgprG2LB+28], v[vgprGlobalReadOffsetB+28], s[sgprSrdB:sgprSrdB+3], 0, offen offset:0 // G -> Reg 0_0_28_0
v_mfma_f32_16x16x16_bf16 a[172+0:175+0], v[vgprValuB_X1_I0+20+0+0:vgprValuB_X1_I0+20+0+0+1], v[vgprValuA_X5_I0+6+0+0:vgprValuA_X5_I0+6+0+0+1], a[172:175]
/*  mfmaIndex:108  */
/* localReadsVacancy: latencyLeft 2 */
v_mfma_f32_16x16x16_bf16 a[188+0:191+0], v[vgprValuB_X1_I0+22+0+0:vgprValuB_X1_I0+22+0+0+1], v[vgprValuA_X5_I0+6+0+0:vgprValuA_X5_I0+6+0+0+1], a[188:191]
/*  mfmaIndex:109  */
/* localReadsVacancy: latencyLeft 2 */
	;; [unrolled: 3-line block ×4, first 2 shown]
_buffer_load_b32 v[vgprG2LB+29], v[vgprGlobalReadOffsetB+29], s[sgprSrdB:sgprSrdB+3], 0, offen offset:0 // G -> Reg 0_0_29_0
v_mfma_f32_16x16x16_bf16 a[176+0:179+0], v[vgprValuB_X1_I0+22+0+0:vgprValuB_X1_I0+22+0+0+1], v[vgprValuA_X5_I0+0+0+0:vgprValuA_X5_I0+0+0+0+1], a[176:179]
/*  mfmaIndex:112  */
/* localReadsVacancy: latencyLeft 2 */
v_mfma_f32_16x16x16_bf16 a[192+0:195+0], v[vgprValuB_X1_I0+24+0+0:vgprValuB_X1_I0+24+0+0+1], v[vgprValuA_X5_I0+0+0+0:vgprValuA_X5_I0+0+0+0+1], a[192:195]
/*  mfmaIndex:113  */
/* localReadsVacancy: latencyLeft 2 */
	;; [unrolled: 3-line block ×4, first 2 shown]
_buffer_load_b32 v[vgprG2LB+30], v[vgprGlobalReadOffsetB+30], s[sgprSrdB:sgprSrdB+3], 0, offen offset:0 // G -> Reg 0_0_30_0
v_mfma_f32_16x16x16_bf16 a[204+0:207+0], v[vgprValuB_X1_I0+24+0+0:vgprValuB_X1_I0+24+0+0+1], v[vgprValuA_X5_I0+6+0+0:vgprValuA_X5_I0+6+0+0+1], a[204:207]
/*  mfmaIndex:116  */
/* localReadsVacancy: latencyLeft 2 */
v_mfma_f32_16x16x16_bf16 a[220+0:223+0], v[vgprValuB_X1_I0+26+0+0:vgprValuB_X1_I0+26+0+0+1], v[vgprValuA_X5_I0+6+0+0:vgprValuA_X5_I0+6+0+0+1], a[220:223]
/*  mfmaIndex:117  */
/* localReadsVacancy: latencyLeft 2 */
	;; [unrolled: 3-line block ×4, first 2 shown]
_buffer_load_b32 v[vgprG2LB+31], v[vgprGlobalReadOffsetB+31], s[sgprSrdB:sgprSrdB+3], 0, offen offset:0 // G -> Reg 0_0_31_0
v_mfma_f32_16x16x16_bf16 a[208+0:211+0], v[vgprValuB_X1_I0+26+0+0:vgprValuB_X1_I0+26+0+0+1], v[vgprValuA_X5_I0+0+0+0:vgprValuA_X5_I0+0+0+0+1], a[208:211]
/*  mfmaIndex:120  */
/* localReadsVacancy: latencyLeft 2 */
v_mfma_f32_16x16x16_bf16 a[224+0:227+0], v[vgprValuB_X1_I0+28+0+0:vgprValuB_X1_I0+28+0+0+1], v[vgprValuA_X5_I0+0+0+0:vgprValuA_X5_I0+0+0+0+1], a[224:227]
/*  mfmaIndex:121  */
/* localReadsVacancy: latencyLeft 2 */
	;; [unrolled: 3-line block ×4, first 2 shown]
_buffer_load_b64 v[vgprG2LA0+0:vgprG2LA0+0+1], v[vgprGlobalReadOffsetA+0], s[sgprSrdA:sgprSrdA+3], 0, offen offset:0 // G -> Reg 0_0_0_0
v_mfma_f32_16x16x16_bf16 a[236+0:239+0], v[vgprValuB_X1_I0+28+0+0:vgprValuB_X1_I0+28+0+0+1], v[vgprValuA_X5_I0+6+0+0:vgprValuA_X5_I0+6+0+0+1], a[236:239]
/*  mfmaIndex:124  */
/* localReadsVacancy: latencyLeft 2 */
v_mfma_f32_16x16x16_bf16 a[252+0:255+0], v[vgprValuB_X1_I0+30+0+0:vgprValuB_X1_I0+30+0+0+1], v[vgprValuA_X5_I0+6+0+0:vgprValuA_X5_I0+6+0+0+1], a[252:255]
/*  mfmaIndex:125  */
/* localReadsVacancy: latencyLeft 2 */
	;; [unrolled: 3-line block ×3, first 2 shown]
_buffer_load_b64 v[vgprG2LA0+2:vgprG2LA0+2+1], v[vgprGlobalReadOffsetA+1], s[sgprSrdA:sgprSrdA+3], 0, offen offset:0 // G -> Reg 0_0_1_0
v_mfma_f32_16x16x16_bf16 a[244+0:247+0], v[vgprValuB_X1_I0+30+0+0:vgprValuB_X1_I0+30+0+0+1], v[vgprValuA_X5_I0+2+0+0:vgprValuA_X5_I0+2+0+0+1], a[244:247]
/*  mfmaIndex:127  */
/* localReadsVacancy: latencyLeft 2 */
v_mfma_f32_16x16x16_bf16 a[240+0:243+0], v[vgprValuB_X1_I0+30+0+0:vgprValuB_X1_I0+30+0+0+1], v[vgprValuA_X5_I0+0+0+0:vgprValuA_X5_I0+0+0+0+1], a[240:243]
/* numPrefetchIter=0 */
/* dataAtIterA=0 numReadsIterA=2 skipReadsIterA=1 readsPerIterA=1 */
/* dataAtIterB=0 numReadsIterB=2 skipReadsIterB=1 readsPerIterB=16 */


/* iter 2 (reset local read pointers iteration)  (swap local read pointers iteration)  */

s_waitcnt vmcnt(38)                                // lgkmcnt=-1 vmcnt=38global read wait for DirectToVgpr

/*  grEndMfmaIndex:184, lwStartMfmaIndex:197, lwEndMfmaIndex:228  */
/*  numMfmaForLR:21, barrierMfmaIndex:234 */
/*  mfmaIndex:128  */
_ds_load_b64 v[vgprValuB_X1_I0+0:vgprValuB_X1_I0+0+1], v[vgprLocalReadAddrB] offset:96 // L -> Reg lro=48 swapByteOffset=0 ti=32 vIdx=0 rIdx=0 oIdx=0 buffer=1 iui=0
s_waitcnt lgkmcnt(1)                               // lgkmcnt=0 vmcnt=-1wait for prior local read local write old=0, new=1 newLW=0 newLR=1
/* pack scheduling: packAIdx:2, packBIdx:0 */
v_perm_b32 v[vgprValuA_X6_I0+0], v[vgprValuA_X6_I0_D1+0], v[vgprValuA_X6_I0_D0+0], s[sgprPackKForV0] // select K=01 for vector=0
v_perm_b32 v[vgprValuA_X6_I0+1], v[vgprValuA_X6_I0_D3+0], v[vgprValuA_X6_I0_D2+0], s[sgprPackKForV0] // select K=23 for vector=0
v_perm_b32 v[vgprValuA_X6_I0+2], v[vgprValuA_X6_I0_D1+0], v[vgprValuA_X6_I0_D0+0], s[sgprPackKForV1] // select K=01 for vector=1
v_perm_b32 v[vgprValuA_X6_I0+3], v[vgprValuA_X6_I0_D3+0], v[vgprValuA_X6_I0_D2+0], s[sgprPackKForV1] // select K=23 for vector=1
v_mfma_f32_16x16x16_bf16 a[0+0:3+0], v[vgprValuB_X0_I0+0+0+0:vgprValuB_X0_I0+0+0+0+1], v[vgprValuA_X6_I0+0+0+0:vgprValuA_X6_I0+0+0+0+1], a[0:3]
/*  mfmaIndex:129  */
_ds_load_b64 v[vgprValuB_X1_I0+2:vgprValuB_X1_I0+2+1], v[vgprLocalReadAddrB] offset:224 // L -> Reg lro=48 swapByteOffset=0 ti=32 vIdx=0 rIdx=0 oIdx=0 buffer=1 iui=0
/* pack scheduling: packAIdx:4, packBIdx:0 */
v_perm_b32 v[vgprValuA_X6_I0+4], v[vgprValuA_X6_I0_D1+1], v[vgprValuA_X6_I0_D0+1], s[sgprPackKForV0] // select K=01 for vector=0
v_perm_b32 v[vgprValuA_X6_I0+5], v[vgprValuA_X6_I0_D3+1], v[vgprValuA_X6_I0_D2+1], s[sgprPackKForV0] // select K=23 for vector=0
v_mfma_f32_16x16x16_bf16 a[4+0:7+0], v[vgprValuB_X0_I0+0+0+0:vgprValuB_X0_I0+0+0+0+1], v[vgprValuA_X6_I0+2+0+0:vgprValuA_X6_I0+2+0+0+1], a[4:7]
/*  mfmaIndex:130  */
_ds_load_b64 v[vgprValuB_X1_I0+4:vgprValuB_X1_I0+4+1], v[vgprLocalReadAddrB] offset:4320 // L -> Reg lro=48 swapByteOffset=0 ti=32 vIdx=1 rIdx=0 oIdx=0 buffer=1 iui=0
_buffer_load_b64 v[vgprG2LA0+4:vgprG2LA0+4+1], v[vgprGlobalReadOffsetA+2], s[sgprSrdA:sgprSrdA+3], 0, offen offset:0 // G -> Reg 0_0_2_0
/* pack scheduling: packAIdx:6, packBIdx:0 */
v_perm_b32 v[vgprValuA_X6_I0+6], v[vgprValuA_X6_I0_D1+1], v[vgprValuA_X6_I0_D0+1], s[sgprPackKForV1] // select K=01 for vector=1
v_perm_b32 v[vgprValuA_X6_I0+7], v[vgprValuA_X6_I0_D3+1], v[vgprValuA_X6_I0_D2+1], s[sgprPackKForV1] // select K=23 for vector=1
v_mfma_f32_16x16x16_bf16 a[8+0:11+0], v[vgprValuB_X0_I0+0+0+0:vgprValuB_X0_I0+0+0+0+1], v[vgprValuA_X6_I0+4+0+0:vgprValuA_X6_I0+4+0+0+1], a[8:11]
/*  mfmaIndex:131  */
_ds_load_b64 v[vgprValuB_X1_I0+6:vgprValuB_X1_I0+6+1], v[vgprLocalReadAddrB] offset:4448 // L -> Reg lro=48 swapByteOffset=0 ti=32 vIdx=1 rIdx=0 oIdx=0 buffer=1 iui=0
v_mfma_f32_16x16x16_bf16 a[12+0:15+0], v[vgprValuB_X0_I0+0+0+0:vgprValuB_X0_I0+0+0+0+1], v[vgprValuA_X6_I0+6+0+0:vgprValuA_X6_I0+6+0+0+1], a[12:15]
/*  mfmaIndex:132  */
_ds_load_b64 v[vgprValuB_X1_I0+8:vgprValuB_X1_I0+8+1], v[vgprLocalReadAddrB] offset:8544 // L -> Reg lro=48 swapByteOffset=0 ti=32 vIdx=2 rIdx=0 oIdx=0 buffer=1 iui=0
	;; [unrolled: 3-line block ×4, first 2 shown]
_buffer_load_b64 v[vgprG2LA0+6:vgprG2LA0+6+1], v[vgprGlobalReadOffsetA+3], s[sgprSrdA:sgprSrdA+3], 0, offen offset:0 // G -> Reg 0_0_3_0
v_mfma_f32_16x16x16_bf16 a[20+0:23+0], v[vgprValuB_X0_I0+2+0+0:vgprValuB_X0_I0+2+0+0+1], v[vgprValuA_X6_I0+2+0+0:vgprValuA_X6_I0+2+0+0+1], a[20:23]
/*  mfmaIndex:135  */
_ds_load_b64 v[vgprValuB_X1_I0+14:vgprValuB_X1_I0+14+1], v[vgprLocalReadAddrB] offset:12896 // L -> Reg lro=48 swapByteOffset=0 ti=32 vIdx=3 rIdx=0 oIdx=0 buffer=1 iui=0
v_mfma_f32_16x16x16_bf16 a[16+0:19+0], v[vgprValuB_X0_I0+2+0+0:vgprValuB_X0_I0+2+0+0+1], v[vgprValuA_X6_I0+0+0+0:vgprValuA_X6_I0+0+0+0+1], a[16:19]
/*  mfmaIndex:136  */
_ds_load_b64 v[vgprValuB_X1_I0+16:vgprValuB_X1_I0+16+1], v[vgprLocalReadAddrB] offset:16992 // L -> Reg lro=48 swapByteOffset=0 ti=32 vIdx=4 rIdx=0 oIdx=0 buffer=1 iui=0
	;; [unrolled: 3-line block ×4, first 2 shown]
_buffer_load_b64 v[vgprG2LA0+8:vgprG2LA0+8+1], v[vgprGlobalReadOffsetA+4], s[sgprSrdA:sgprSrdA+3], 0, offen offset:0 // G -> Reg 0_0_4_0
v_mfma_f32_16x16x16_bf16 a[40+0:43+0], v[vgprValuB_X0_I0+4+0+0:vgprValuB_X0_I0+4+0+0+1], v[vgprValuA_X6_I0+4+0+0:vgprValuA_X6_I0+4+0+0+1], a[40:43]
/*  mfmaIndex:139  */
_ds_load_b64 v[vgprValuB_X1_I0+22:vgprValuB_X1_I0+22+1], v[vgprLocalReadAddrB] offset:21344 // L -> Reg lro=48 swapByteOffset=0 ti=32 vIdx=5 rIdx=0 oIdx=0 buffer=1 iui=0
v_mfma_f32_16x16x16_bf16 a[44+0:47+0], v[vgprValuB_X0_I0+4+0+0:vgprValuB_X0_I0+4+0+0+1], v[vgprValuA_X6_I0+6+0+0:vgprValuA_X6_I0+6+0+0+1], a[44:47]
/*  mfmaIndex:140  */
_ds_load_b64 v[vgprValuB_X1_I0+24:vgprValuB_X1_I0+24+1], v[vgprLocalReadAddrB] offset:25440 // L -> Reg lro=48 swapByteOffset=0 ti=32 vIdx=6 rIdx=0 oIdx=0 buffer=1 iui=0
	;; [unrolled: 3-line block ×4, first 2 shown]
_buffer_load_b64 v[vgprG2LA0+10:vgprG2LA0+10+1], v[vgprGlobalReadOffsetA+5], s[sgprSrdA:sgprSrdA+3], 0, offen offset:0 // G -> Reg 0_0_5_0
v_mfma_f32_16x16x16_bf16 a[52+0:55+0], v[vgprValuB_X0_I0+6+0+0:vgprValuB_X0_I0+6+0+0+1], v[vgprValuA_X6_I0+2+0+0:vgprValuA_X6_I0+2+0+0+1], a[52:55]
/*  mfmaIndex:143  */
_ds_load_b64 v[vgprValuB_X1_I0+30:vgprValuB_X1_I0+30+1], v[vgprLocalReadAddrB] offset:29792 // L -> Reg lro=48 swapByteOffset=0 ti=32 vIdx=7 rIdx=0 oIdx=0 buffer=1 iui=0
v_mfma_f32_16x16x16_bf16 a[48+0:51+0], v[vgprValuB_X0_I0+6+0+0:vgprValuB_X0_I0+6+0+0+1], v[vgprValuA_X6_I0+0+0+0:vgprValuA_X6_I0+0+0+0+1], a[48:51]
/*  mfmaIndex:144  */
/* localReadsVacancy: latencyLeft 2 */
v_mfma_f32_16x16x16_bf16 a[64+0:67+0], v[vgprValuB_X0_I0+8+0+0:vgprValuB_X0_I0+8+0+0+1], v[vgprValuA_X6_I0+0+0+0:vgprValuA_X6_I0+0+0+0+1], a[64:67]
/*  mfmaIndex:145  */
/* localReadsVacancy: latencyLeft 2 */
	;; [unrolled: 3-line block ×3, first 2 shown]
_buffer_load_b64 v[vgprG2LA0+12:vgprG2LA0+12+1], v[vgprGlobalReadOffsetA+6], s[sgprSrdA:sgprSrdA+3], 0, offen offset:0 // G -> Reg 0_0_6_0
v_mfma_f32_16x16x16_bf16 a[72+0:75+0], v[vgprValuB_X0_I0+8+0+0:vgprValuB_X0_I0+8+0+0+1], v[vgprValuA_X6_I0+4+0+0:vgprValuA_X6_I0+4+0+0+1], a[72:75]
/*  mfmaIndex:147  */
/* localReadsVacancy: latencyLeft 2 */
v_mfma_f32_16x16x16_bf16 a[76+0:79+0], v[vgprValuB_X0_I0+8+0+0:vgprValuB_X0_I0+8+0+0+1], v[vgprValuA_X6_I0+6+0+0:vgprValuA_X6_I0+6+0+0+1], a[76:79]
/*  mfmaIndex:148  */
/* localReadsVacancy: latencyLeft 2 */
	;; [unrolled: 3-line block ×4, first 2 shown]
_buffer_load_b64 v[vgprG2LA0+14:vgprG2LA0+14+1], v[vgprGlobalReadOffsetA+7], s[sgprSrdA:sgprSrdA+3], 0, offen offset:0 // G -> Reg 0_0_7_0
v_mfma_f32_16x16x16_bf16 a[84+0:87+0], v[vgprValuB_X0_I0+10+0+0:vgprValuB_X0_I0+10+0+0+1], v[vgprValuA_X6_I0+2+0+0:vgprValuA_X6_I0+2+0+0+1], a[84:87]
/*  mfmaIndex:151  */
/* localReadsVacancy: latencyLeft 2 */
v_mfma_f32_16x16x16_bf16 a[80+0:83+0], v[vgprValuB_X0_I0+10+0+0:vgprValuB_X0_I0+10+0+0+1], v[vgprValuA_X6_I0+0+0+0:vgprValuA_X6_I0+0+0+0+1], a[80:83]
/*  mfmaIndex:152  */
/* localReadsVacancy: latencyLeft 2 */
	;; [unrolled: 3-line block ×3, first 2 shown]
_buffer_load_b64 v[vgprG2LA0+16:vgprG2LA0+16+1], v[vgprGlobalReadOffsetA+8], s[sgprSrdA:sgprSrdA+3], 0, offen offset:0 // G -> Reg 0_0_8_0
v_mfma_f32_16x16x16_bf16 a[100+0:103+0], v[vgprValuB_X0_I0+12+0+0:vgprValuB_X0_I0+12+0+0+1], v[vgprValuA_X6_I0+2+0+0:vgprValuA_X6_I0+2+0+0+1], a[100:103]
/*  mfmaIndex:154  */
/* localReadsVacancy: latencyLeft 2 */
v_mfma_f32_16x16x16_bf16 a[104+0:107+0], v[vgprValuB_X0_I0+12+0+0:vgprValuB_X0_I0+12+0+0+1], v[vgprValuA_X6_I0+4+0+0:vgprValuA_X6_I0+4+0+0+1], a[104:107]
/*  mfmaIndex:155  */
/* localReadsVacancy: latencyLeft 2 */
	;; [unrolled: 3-line block ×4, first 2 shown]
_buffer_load_b64 v[vgprG2LA0+18:vgprG2LA0+18+1], v[vgprGlobalReadOffsetA+9], s[sgprSrdA:sgprSrdA+3], 0, offen offset:0 // G -> Reg 0_0_9_0
v_mfma_f32_16x16x16_bf16 a[120+0:123+0], v[vgprValuB_X0_I0+14+0+0:vgprValuB_X0_I0+14+0+0+1], v[vgprValuA_X6_I0+4+0+0:vgprValuA_X6_I0+4+0+0+1], a[120:123]
/*  mfmaIndex:158  */
/* localReadsVacancy: latencyLeft 2 */
v_mfma_f32_16x16x16_bf16 a[116+0:119+0], v[vgprValuB_X0_I0+14+0+0:vgprValuB_X0_I0+14+0+0+1], v[vgprValuA_X6_I0+2+0+0:vgprValuA_X6_I0+2+0+0+1], a[116:119]
/*  mfmaIndex:159  */
/* localReadsVacancy: latencyLeft 2 */
	;; [unrolled: 3-line block ×4, first 2 shown]
_buffer_load_b64 v[vgprG2LA0+20:vgprG2LA0+20+1], v[vgprGlobalReadOffsetA+10], s[sgprSrdA:sgprSrdA+3], 0, offen offset:0 // G -> Reg 0_0_10_0
v_mfma_f32_16x16x16_bf16 a[132+0:135+0], v[vgprValuB_X0_I0+16+0+0:vgprValuB_X0_I0+16+0+0+1], v[vgprValuA_X6_I0+2+0+0:vgprValuA_X6_I0+2+0+0+1], a[132:135]
/*  mfmaIndex:162  */
/* localReadsVacancy: latencyLeft 2 */
v_mfma_f32_16x16x16_bf16 a[136+0:139+0], v[vgprValuB_X0_I0+16+0+0:vgprValuB_X0_I0+16+0+0+1], v[vgprValuA_X6_I0+4+0+0:vgprValuA_X6_I0+4+0+0+1], a[136:139]
/*  mfmaIndex:163  */
/* localReadsVacancy: latencyLeft 2 */
	;; [unrolled: 3-line block ×4, first 2 shown]
_buffer_load_b64 v[vgprG2LA0+22:vgprG2LA0+22+1], v[vgprGlobalReadOffsetA+11], s[sgprSrdA:sgprSrdA+3], 0, offen offset:0 // G -> Reg 0_0_11_0
v_mfma_f32_16x16x16_bf16 a[152+0:155+0], v[vgprValuB_X0_I0+18+0+0:vgprValuB_X0_I0+18+0+0+1], v[vgprValuA_X6_I0+4+0+0:vgprValuA_X6_I0+4+0+0+1], a[152:155]
/*  mfmaIndex:166  */
/* localReadsVacancy: latencyLeft 2 */
v_mfma_f32_16x16x16_bf16 a[148+0:151+0], v[vgprValuB_X0_I0+18+0+0:vgprValuB_X0_I0+18+0+0+1], v[vgprValuA_X6_I0+2+0+0:vgprValuA_X6_I0+2+0+0+1], a[148:151]
/*  mfmaIndex:167  */
/* localReadsVacancy: latencyLeft 2 */
	;; [unrolled: 3-line block ×4, first 2 shown]
_buffer_load_b64 v[vgprG2LA0+24:vgprG2LA0+24+1], v[vgprGlobalReadOffsetA+12], s[sgprSrdA:sgprSrdA+3], 0, offen offset:0 // G -> Reg 0_0_12_0
v_mfma_f32_16x16x16_bf16 a[164+0:167+0], v[vgprValuB_X0_I0+20+0+0:vgprValuB_X0_I0+20+0+0+1], v[vgprValuA_X6_I0+2+0+0:vgprValuA_X6_I0+2+0+0+1], a[164:167]
/*  mfmaIndex:170  */
/* localReadsVacancy: latencyLeft 2 */
v_mfma_f32_16x16x16_bf16 a[168+0:171+0], v[vgprValuB_X0_I0+20+0+0:vgprValuB_X0_I0+20+0+0+1], v[vgprValuA_X6_I0+4+0+0:vgprValuA_X6_I0+4+0+0+1], a[168:171]
/*  mfmaIndex:171  */
/* localReadsVacancy: latencyLeft 2 */
	;; [unrolled: 3-line block ×4, first 2 shown]
_buffer_load_b64 v[vgprG2LA0+26:vgprG2LA0+26+1], v[vgprGlobalReadOffsetA+13], s[sgprSrdA:sgprSrdA+3], 0, offen offset:0 // G -> Reg 0_0_13_0
v_mfma_f32_16x16x16_bf16 a[184+0:187+0], v[vgprValuB_X0_I0+22+0+0:vgprValuB_X0_I0+22+0+0+1], v[vgprValuA_X6_I0+4+0+0:vgprValuA_X6_I0+4+0+0+1], a[184:187]
/*  mfmaIndex:174  */
/* localReadsVacancy: latencyLeft 2 */
v_mfma_f32_16x16x16_bf16 a[180+0:183+0], v[vgprValuB_X0_I0+22+0+0:vgprValuB_X0_I0+22+0+0+1], v[vgprValuA_X6_I0+2+0+0:vgprValuA_X6_I0+2+0+0+1], a[180:183]
/*  mfmaIndex:175  */
/* localReadsVacancy: latencyLeft 2 */
	;; [unrolled: 3-line block ×3, first 2 shown]
_buffer_load_b64 v[vgprG2LA0+28:vgprG2LA0+28+1], v[vgprGlobalReadOffsetA+14], s[sgprSrdA:sgprSrdA+3], 0, offen offset:0 // G -> Reg 0_0_14_0
v_mfma_f32_16x16x16_bf16 a[192+0:195+0], v[vgprValuB_X0_I0+24+0+0:vgprValuB_X0_I0+24+0+0+1], v[vgprValuA_X6_I0+0+0+0:vgprValuA_X6_I0+0+0+0+1], a[192:195]
/*  mfmaIndex:177  */
/* localReadsVacancy: latencyLeft 2 */
v_mfma_f32_16x16x16_bf16 a[196+0:199+0], v[vgprValuB_X0_I0+24+0+0:vgprValuB_X0_I0+24+0+0+1], v[vgprValuA_X6_I0+2+0+0:vgprValuA_X6_I0+2+0+0+1], a[196:199]
/*  mfmaIndex:178  */
/* localReadsVacancy: latencyLeft 2 */
	;; [unrolled: 3-line block ×4, first 2 shown]
_buffer_load_b64 v[vgprG2LA0+30:vgprG2LA0+30+1], v[vgprGlobalReadOffsetA+15], s[sgprSrdA:sgprSrdA+3], 0, offen offset:0 // G -> Reg 0_0_15_0
v_mfma_f32_16x16x16_bf16 a[220+0:223+0], v[vgprValuB_X0_I0+26+0+0:vgprValuB_X0_I0+26+0+0+1], v[vgprValuA_X6_I0+6+0+0:vgprValuA_X6_I0+6+0+0+1], a[220:223]
/*  mfmaIndex:181  */
/* localReadsVacancy: latencyLeft 2 */
v_mfma_f32_16x16x16_bf16 a[216+0:219+0], v[vgprValuB_X0_I0+26+0+0:vgprValuB_X0_I0+26+0+0+1], v[vgprValuA_X6_I0+4+0+0:vgprValuA_X6_I0+4+0+0+1], a[216:219]
/*  mfmaIndex:182  */
/* localReadsVacancy: latencyLeft 2 */
	;; [unrolled: 3-line block ×4, first 2 shown]

/* global read inc B loopL */
s_add_u32 s[sgprSrdB+0], s[sgprSrdB+0], s[sgprGlobalReadIncsB+0] // gra SRD += inc(lower)
v_mfma_f32_16x16x16_bf16 a[224+0:227+0], v[vgprValuB_X0_I0+28+0+0:vgprValuB_X0_I0+28+0+0+1], v[vgprValuA_X6_I0+0+0+0:vgprValuA_X6_I0+0+0+0+1], a[224:227]
/*  mfmaIndex:185  */
/* localReadsVacancy: latencyLeft 2 */
s_addc_u32  s[sgprSrdB+1], s[sgprSrdB+1], 0        // gra SRD += inc(upper)
v_mfma_f32_16x16x16_bf16 a[228+0:231+0], v[vgprValuB_X0_I0+28+0+0:vgprValuB_X0_I0+28+0+0+1], v[vgprValuA_X6_I0+2+0+0:vgprValuA_X6_I0+2+0+0+1], a[228:231]
/*  mfmaIndex:186  */
/* localReadsVacancy: latencyLeft 2 */
s_sub_u32 s[sgprShadowLimitB+0], s[sgprShadowLimitB+0], s[sgprGlobalReadIncsB+0] // limit -= inc)
v_mfma_f32_16x16x16_bf16 a[232+0:235+0], v[vgprValuB_X0_I0+28+0+0:vgprValuB_X0_I0+28+0+0+1], v[vgprValuA_X6_I0+4+0+0:vgprValuA_X6_I0+4+0+0+1], a[232:235]
/*  mfmaIndex:187  */
/* localReadsVacancy: latencyLeft 2 */
s_subb_u32 s[sgprShadowLimitB+1], s[sgprShadowLimitB+1], 0 // limit -= inc)
v_mfma_f32_16x16x16_bf16 a[236+0:239+0], v[vgprValuB_X0_I0+28+0+0:vgprValuB_X0_I0+28+0+0+1], v[vgprValuA_X6_I0+6+0+0:vgprValuA_X6_I0+6+0+0+1], a[236:239]
/*  mfmaIndex:188  */
/* localReadsVacancy: latencyLeft 2 */
s_cmp_eq_u32 s[sgprShadowLimitB+1], 0              // are we within 2^32?
v_mfma_f32_16x16x16_bf16 a[252+0:255+0], v[vgprValuB_X0_I0+30+0+0:vgprValuB_X0_I0+30+0+0+1], v[vgprValuA_X6_I0+6+0+0:vgprValuA_X6_I0+6+0+0+1], a[252:255]
/*  mfmaIndex:189  */
/* localReadsVacancy: latencyLeft 2 */
s_cmov_b32 s[sgprSrdB+2], s[sgprShadowLimitB+0]    // Move shadow to real if we are within 2^32
v_mfma_f32_16x16x16_bf16 a[248+0:251+0], v[vgprValuB_X0_I0+30+0+0:vgprValuB_X0_I0+30+0+0+1], v[vgprValuA_X6_I0+4+0+0:vgprValuA_X6_I0+4+0+0+1], a[248:251]
/*  mfmaIndex:190  */
/* localReadsVacancy: latencyLeft 2 */

/* global read inc A loopL */
s_add_u32 s[sgprSrdA+0], s[sgprSrdA+0], s[sgprGlobalReadIncsA+0] // gra SRD += inc(lower)
v_mfma_f32_16x16x16_bf16 a[244+0:247+0], v[vgprValuB_X0_I0+30+0+0:vgprValuB_X0_I0+30+0+0+1], v[vgprValuA_X6_I0+2+0+0:vgprValuA_X6_I0+2+0+0+1], a[244:247]
/*  mfmaIndex:191  */
/* localReadsVacancy: latencyLeft 2 */
s_addc_u32  s[sgprSrdA+1], s[sgprSrdA+1], 0        // gra SRD += inc(upper)

/* local read swap offsets a */

/* local read swap offsets b */

/* local read init pointers a */

/* local read init pointers b */

/* localReadInitPointers */
v_mfma_f32_16x16x16_bf16 a[240+0:243+0], v[vgprValuB_X0_I0+30+0+0:vgprValuB_X0_I0+30+0+0+1], v[vgprValuA_X6_I0+0+0+0:vgprValuA_X6_I0+0+0+0+1], a[240:243]
/* numPrefetchIter=0 */
/* dataAtIterA=1 numReadsIterA=3 skipReadsIterA=1 readsPerIterA=1 */
/* dataAtIterB=1 numReadsIterB=3 skipReadsIterB=1 readsPerIterB=16 */


/* iter 3 (swap and reset local write pointers iteration)  */

s_waitcnt vmcnt(48)                                // lgkmcnt=-1 vmcnt=48global read wait for DirectToVgpr

/*  grEndMfmaIndex:184, lwStartMfmaIndex:197, lwEndMfmaIndex:228  */
/*  numMfmaForLR:21, barrierMfmaIndex:234 */
/*  mfmaIndex:192  */
s_sub_u32 s[sgprShadowLimitA+0], s[sgprShadowLimitA+0], s[sgprGlobalReadIncsA+0] // limit -= inc)
s_waitcnt lgkmcnt(0)                               // lgkmcnt=0 vmcnt=-1wait for prior local read local write old=0, new=0 newLW=0 newLR=0
/* pack scheduling: packAIdx:2, packBIdx:0 */
v_perm_b32 v[vgprValuA_X7_I0+0], v[vgprValuA_X7_I0_D1+0], v[vgprValuA_X7_I0_D0+0], s[sgprPackKForV0] // select K=01 for vector=0
v_perm_b32 v[vgprValuA_X7_I0+1], v[vgprValuA_X7_I0_D3+0], v[vgprValuA_X7_I0_D2+0], s[sgprPackKForV0] // select K=23 for vector=0
v_perm_b32 v[vgprValuA_X7_I0+2], v[vgprValuA_X7_I0_D1+0], v[vgprValuA_X7_I0_D0+0], s[sgprPackKForV1] // select K=01 for vector=1
v_perm_b32 v[vgprValuA_X7_I0+3], v[vgprValuA_X7_I0_D3+0], v[vgprValuA_X7_I0_D2+0], s[sgprPackKForV1] // select K=23 for vector=1
v_mfma_f32_16x16x16_bf16 a[0+0:3+0], v[vgprValuB_X1_I0+0+0+0:vgprValuB_X1_I0+0+0+0+1], v[vgprValuA_X7_I0+0+0+0:vgprValuA_X7_I0+0+0+0+1], a[0:3]
/*  mfmaIndex:193  */
s_subb_u32 s[sgprShadowLimitA+1], s[sgprShadowLimitA+1], 0 // limit -= inc)
/* pack scheduling: packAIdx:4, packBIdx:0 */
v_perm_b32 v[vgprValuA_X7_I0+4], v[vgprValuA_X7_I0_D1+1], v[vgprValuA_X7_I0_D0+1], s[sgprPackKForV0] // select K=01 for vector=0
v_perm_b32 v[vgprValuA_X7_I0+5], v[vgprValuA_X7_I0_D3+1], v[vgprValuA_X7_I0_D2+1], s[sgprPackKForV0] // select K=23 for vector=0
v_mfma_f32_16x16x16_bf16 a[4+0:7+0], v[vgprValuB_X1_I0+0+0+0:vgprValuB_X1_I0+0+0+0+1], v[vgprValuA_X7_I0+2+0+0:vgprValuA_X7_I0+2+0+0+1], a[4:7]
/*  mfmaIndex:194  */
s_cmp_eq_u32 s[sgprShadowLimitA+1], 0              // are we within 2^32?
/* pack scheduling: packAIdx:6, packBIdx:0 */
v_perm_b32 v[vgprValuA_X7_I0+6], v[vgprValuA_X7_I0_D1+1], v[vgprValuA_X7_I0_D0+1], s[sgprPackKForV1] // select K=01 for vector=1
v_perm_b32 v[vgprValuA_X7_I0+7], v[vgprValuA_X7_I0_D3+1], v[vgprValuA_X7_I0_D2+1], s[sgprPackKForV1] // select K=23 for vector=1
v_mfma_f32_16x16x16_bf16 a[8+0:11+0], v[vgprValuB_X1_I0+0+0+0:vgprValuB_X1_I0+0+0+0+1], v[vgprValuA_X7_I0+4+0+0:vgprValuA_X7_I0+4+0+0+1], a[8:11]
/*  mfmaIndex:195  */
s_cmov_b32 s[sgprSrdA+2], s[sgprShadowLimitA+0]    // Move shadow to real if we are within 2^32
v_mfma_f32_16x16x16_bf16 a[12+0:15+0], v[vgprValuB_X1_I0+0+0+0:vgprValuB_X1_I0+0+0+0+1], v[vgprValuA_X7_I0+6+0+0:vgprValuA_X7_I0+6+0+0+1], a[12:15]
/*  mfmaIndex:196  */
/* 1 LDS buffer: read-sync-write */
s_waitcnt lgkmcnt(0)                               // 
s_barrier                                          // 
v_mfma_f32_16x16x16_bf16 a[28+0:31+0], v[vgprValuB_X1_I0+2+0+0:vgprValuB_X1_I0+2+0+0+1], v[vgprValuA_X7_I0+6+0+0:vgprValuA_X7_I0+6+0+0+1], a[28:31]
s_setprio 0                                        // store optimization
/*  mfmaIndex:197  */
/* sched write - iter 3 writesPerItem=1 */
s_waitcnt vmcnt(0)                                 // lgkmcnt=-1 vmcnt=0wait for global read before writing to local
_ds_store_b32 v[vgprLocalWriteAddrB], v[vgprG2LB+0] offset:0 // lwoB_0_0_0_0 = (0*LSCB)*(MT1J+PAD) + (0*LSPB) = 0
v_mfma_f32_16x16x16_bf16 a[24+0:27+0], v[vgprValuB_X1_I0+2+0+0:vgprValuB_X1_I0+2+0+0+1], v[vgprValuA_X7_I0+4+0+0:vgprValuA_X7_I0+4+0+0+1], a[24:27]
/*  mfmaIndex:198  */
/* sched write - iter 3 writesPerItem=1 */
s_waitcnt vmcnt(0)                                 // lgkmcnt=-1 vmcnt=0wait for global read before writing to local
_ds_store_b32 v[vgprLocalWriteAddrB], v[vgprG2LB+1] offset:1056 // lwoB_0_0_1_0 = (0*LSCB)*(MT1J+PAD) + (1*LSPB) = 1056
v_mfma_f32_16x16x16_bf16 a[20+0:23+0], v[vgprValuB_X1_I0+2+0+0:vgprValuB_X1_I0+2+0+0+1], v[vgprValuA_X7_I0+2+0+0:vgprValuA_X7_I0+2+0+0+1], a[20:23]
/*  mfmaIndex:199  */
/* sched write - iter 3 writesPerItem=1 */
s_waitcnt vmcnt(0)                                 // lgkmcnt=-1 vmcnt=0wait for global read before writing to local
_ds_store_b32 v[vgprLocalWriteAddrB], v[vgprG2LB+2] offset:2112 // lwoB_0_0_2_0 = (0*LSCB)*(MT1J+PAD) + (2*LSPB) = 2112
v_mfma_f32_16x16x16_bf16 a[16+0:19+0], v[vgprValuB_X1_I0+2+0+0:vgprValuB_X1_I0+2+0+0+1], v[vgprValuA_X7_I0+0+0+0:vgprValuA_X7_I0+0+0+0+1], a[16:19]
/*  mfmaIndex:200  */
/* sched write - iter 3 writesPerItem=1 */
s_waitcnt vmcnt(0)                                 // lgkmcnt=-1 vmcnt=0wait for global read before writing to local
_ds_store_b32 v[vgprLocalWriteAddrB], v[vgprG2LB+3] offset:3168 // lwoB_0_0_3_0 = (0*LSCB)*(MT1J+PAD) + (3*LSPB) = 3168
v_mfma_f32_16x16x16_bf16 a[32+0:35+0], v[vgprValuB_X1_I0+4+0+0:vgprValuB_X1_I0+4+0+0+1], v[vgprValuA_X7_I0+0+0+0:vgprValuA_X7_I0+0+0+0+1], a[32:35]
/*  mfmaIndex:201  */
/* sched write - iter 3 writesPerItem=1 */
s_waitcnt vmcnt(0)                                 // lgkmcnt=-1 vmcnt=0wait for global read before writing to local
_ds_store_b32 v[vgprLocalWriteAddrB], v[vgprG2LB+4] offset:4224 // lwoB_0_0_4_0 = (0*LSCB)*(MT1J+PAD) + (4*LSPB) = 4224
v_mfma_f32_16x16x16_bf16 a[36+0:39+0], v[vgprValuB_X1_I0+4+0+0:vgprValuB_X1_I0+4+0+0+1], v[vgprValuA_X7_I0+2+0+0:vgprValuA_X7_I0+2+0+0+1], a[36:39]
/*  mfmaIndex:202  */
/* sched write - iter 3 writesPerItem=1 */
s_waitcnt vmcnt(0)                                 // lgkmcnt=-1 vmcnt=0wait for global read before writing to local
_ds_store_b32 v[vgprLocalWriteAddrB], v[vgprG2LB+5] offset:5280 // lwoB_0_0_5_0 = (0*LSCB)*(MT1J+PAD) + (5*LSPB) = 5280
v_mfma_f32_16x16x16_bf16 a[40+0:43+0], v[vgprValuB_X1_I0+4+0+0:vgprValuB_X1_I0+4+0+0+1], v[vgprValuA_X7_I0+4+0+0:vgprValuA_X7_I0+4+0+0+1], a[40:43]
/*  mfmaIndex:203  */
/* sched write - iter 3 writesPerItem=1 */
s_waitcnt vmcnt(0)                                 // lgkmcnt=-1 vmcnt=0wait for global read before writing to local
_ds_store_b32 v[vgprLocalWriteAddrB], v[vgprG2LB+6] offset:6336 // lwoB_0_0_6_0 = (0*LSCB)*(MT1J+PAD) + (6*LSPB) = 6336
v_mfma_f32_16x16x16_bf16 a[44+0:47+0], v[vgprValuB_X1_I0+4+0+0:vgprValuB_X1_I0+4+0+0+1], v[vgprValuA_X7_I0+6+0+0:vgprValuA_X7_I0+6+0+0+1], a[44:47]
/*  mfmaIndex:204  */
/* sched write - iter 3 writesPerItem=1 */
s_waitcnt vmcnt(0)                                 // lgkmcnt=-1 vmcnt=0wait for global read before writing to local
_ds_store_b32 v[vgprLocalWriteAddrB], v[vgprG2LB+7] offset:7392 // lwoB_0_0_7_0 = (0*LSCB)*(MT1J+PAD) + (7*LSPB) = 7392
v_mfma_f32_16x16x16_bf16 a[60+0:63+0], v[vgprValuB_X1_I0+6+0+0:vgprValuB_X1_I0+6+0+0+1], v[vgprValuA_X7_I0+6+0+0:vgprValuA_X7_I0+6+0+0+1], a[60:63]
/*  mfmaIndex:205  */
/* sched write - iter 3 writesPerItem=1 */
s_waitcnt vmcnt(0)                                 // lgkmcnt=-1 vmcnt=0wait for global read before writing to local
_ds_store_b32 v[vgprLocalWriteAddrB], v[vgprG2LB+8] offset:8448 // lwoB_0_0_8_0 = (0*LSCB)*(MT1J+PAD) + (8*LSPB) = 8448
v_mfma_f32_16x16x16_bf16 a[56+0:59+0], v[vgprValuB_X1_I0+6+0+0:vgprValuB_X1_I0+6+0+0+1], v[vgprValuA_X7_I0+4+0+0:vgprValuA_X7_I0+4+0+0+1], a[56:59]
/*  mfmaIndex:206  */
/* sched write - iter 3 writesPerItem=1 */
s_waitcnt vmcnt(0)                                 // lgkmcnt=-1 vmcnt=0wait for global read before writing to local
_ds_store_b32 v[vgprLocalWriteAddrB], v[vgprG2LB+9] offset:9504 // lwoB_0_0_9_0 = (0*LSCB)*(MT1J+PAD) + (9*LSPB) = 9504
v_mfma_f32_16x16x16_bf16 a[52+0:55+0], v[vgprValuB_X1_I0+6+0+0:vgprValuB_X1_I0+6+0+0+1], v[vgprValuA_X7_I0+2+0+0:vgprValuA_X7_I0+2+0+0+1], a[52:55]
/*  mfmaIndex:207  */
/* sched write - iter 3 writesPerItem=1 */
s_waitcnt vmcnt(0)                                 // lgkmcnt=-1 vmcnt=0wait for global read before writing to local
_ds_store_b32 v[vgprLocalWriteAddrB], v[vgprG2LB+10] offset:10560 // lwoB_0_0_10_0 = (0*LSCB)*(MT1J+PAD) + (10*LSPB) = 10560
v_mfma_f32_16x16x16_bf16 a[48+0:51+0], v[vgprValuB_X1_I0+6+0+0:vgprValuB_X1_I0+6+0+0+1], v[vgprValuA_X7_I0+0+0+0:vgprValuA_X7_I0+0+0+0+1], a[48:51]
/*  mfmaIndex:208  */
/* sched write - iter 3 writesPerItem=1 */
s_waitcnt vmcnt(0)                                 // lgkmcnt=-1 vmcnt=0wait for global read before writing to local
_ds_store_b32 v[vgprLocalWriteAddrB], v[vgprG2LB+11] offset:11616 // lwoB_0_0_11_0 = (0*LSCB)*(MT1J+PAD) + (11*LSPB) = 11616
v_mfma_f32_16x16x16_bf16 a[64+0:67+0], v[vgprValuB_X1_I0+8+0+0:vgprValuB_X1_I0+8+0+0+1], v[vgprValuA_X7_I0+0+0+0:vgprValuA_X7_I0+0+0+0+1], a[64:67]
/*  mfmaIndex:209  */
/* sched write - iter 3 writesPerItem=1 */
s_waitcnt vmcnt(0)                                 // lgkmcnt=-1 vmcnt=0wait for global read before writing to local
_ds_store_b32 v[vgprLocalWriteAddrB], v[vgprG2LB+12] offset:12672 // lwoB_0_0_12_0 = (0*LSCB)*(MT1J+PAD) + (12*LSPB) = 12672
v_mfma_f32_16x16x16_bf16 a[68+0:71+0], v[vgprValuB_X1_I0+8+0+0:vgprValuB_X1_I0+8+0+0+1], v[vgprValuA_X7_I0+2+0+0:vgprValuA_X7_I0+2+0+0+1], a[68:71]
/*  mfmaIndex:210  */
/* sched write - iter 3 writesPerItem=1 */
s_waitcnt vmcnt(0)                                 // lgkmcnt=-1 vmcnt=0wait for global read before writing to local
_ds_store_b32 v[vgprLocalWriteAddrB], v[vgprG2LB+13] offset:13728 // lwoB_0_0_13_0 = (0*LSCB)*(MT1J+PAD) + (13*LSPB) = 13728
v_mfma_f32_16x16x16_bf16 a[72+0:75+0], v[vgprValuB_X1_I0+8+0+0:vgprValuB_X1_I0+8+0+0+1], v[vgprValuA_X7_I0+4+0+0:vgprValuA_X7_I0+4+0+0+1], a[72:75]
/*  mfmaIndex:211  */
/* sched write - iter 3 writesPerItem=1 */
s_waitcnt vmcnt(0)                                 // lgkmcnt=-1 vmcnt=0wait for global read before writing to local
_ds_store_b32 v[vgprLocalWriteAddrB], v[vgprG2LB+14] offset:14784 // lwoB_0_0_14_0 = (0*LSCB)*(MT1J+PAD) + (14*LSPB) = 14784
v_mfma_f32_16x16x16_bf16 a[76+0:79+0], v[vgprValuB_X1_I0+8+0+0:vgprValuB_X1_I0+8+0+0+1], v[vgprValuA_X7_I0+6+0+0:vgprValuA_X7_I0+6+0+0+1], a[76:79]
/*  mfmaIndex:212  */
/* sched write - iter 3 writesPerItem=1 */
s_waitcnt vmcnt(0)                                 // lgkmcnt=-1 vmcnt=0wait for global read before writing to local
_ds_store_b32 v[vgprLocalWriteAddrB], v[vgprG2LB+15] offset:15840 // lwoB_0_0_15_0 = (0*LSCB)*(MT1J+PAD) + (15*LSPB) = 15840
v_mfma_f32_16x16x16_bf16 a[92+0:95+0], v[vgprValuB_X1_I0+10+0+0:vgprValuB_X1_I0+10+0+0+1], v[vgprValuA_X7_I0+6+0+0:vgprValuA_X7_I0+6+0+0+1], a[92:95]
/*  mfmaIndex:213  */
/* sched write - iter 3 writesPerItem=1 */
s_waitcnt vmcnt(0)                                 // lgkmcnt=-1 vmcnt=0wait for global read before writing to local
_ds_store_b32 v[vgprLocalWriteAddrB], v[vgprG2LB+16] offset:16896 // lwoB_0_0_16_0 = (0*LSCB)*(MT1J+PAD) + (16*LSPB) = 16896
v_mfma_f32_16x16x16_bf16 a[88+0:91+0], v[vgprValuB_X1_I0+10+0+0:vgprValuB_X1_I0+10+0+0+1], v[vgprValuA_X7_I0+4+0+0:vgprValuA_X7_I0+4+0+0+1], a[88:91]
/*  mfmaIndex:214  */
/* sched write - iter 3 writesPerItem=1 */
s_waitcnt vmcnt(0)                                 // lgkmcnt=-1 vmcnt=0wait for global read before writing to local
_ds_store_b32 v[vgprLocalWriteAddrB], v[vgprG2LB+17] offset:17952 // lwoB_0_0_17_0 = (0*LSCB)*(MT1J+PAD) + (17*LSPB) = 17952
v_mfma_f32_16x16x16_bf16 a[84+0:87+0], v[vgprValuB_X1_I0+10+0+0:vgprValuB_X1_I0+10+0+0+1], v[vgprValuA_X7_I0+2+0+0:vgprValuA_X7_I0+2+0+0+1], a[84:87]
/*  mfmaIndex:215  */
/* sched write - iter 3 writesPerItem=1 */
s_waitcnt vmcnt(0)                                 // lgkmcnt=-1 vmcnt=0wait for global read before writing to local
_ds_store_b32 v[vgprLocalWriteAddrB], v[vgprG2LB+18] offset:19008 // lwoB_0_0_18_0 = (0*LSCB)*(MT1J+PAD) + (18*LSPB) = 19008
v_mfma_f32_16x16x16_bf16 a[80+0:83+0], v[vgprValuB_X1_I0+10+0+0:vgprValuB_X1_I0+10+0+0+1], v[vgprValuA_X7_I0+0+0+0:vgprValuA_X7_I0+0+0+0+1], a[80:83]
/*  mfmaIndex:216  */
/* sched write - iter 3 writesPerItem=1 */
s_waitcnt vmcnt(0)                                 // lgkmcnt=-1 vmcnt=0wait for global read before writing to local
_ds_store_b32 v[vgprLocalWriteAddrB], v[vgprG2LB+19] offset:20064 // lwoB_0_0_19_0 = (0*LSCB)*(MT1J+PAD) + (19*LSPB) = 20064
v_mfma_f32_16x16x16_bf16 a[96+0:99+0], v[vgprValuB_X1_I0+12+0+0:vgprValuB_X1_I0+12+0+0+1], v[vgprValuA_X7_I0+0+0+0:vgprValuA_X7_I0+0+0+0+1], a[96:99]
/*  mfmaIndex:217  */
/* sched write - iter 3 writesPerItem=1 */
s_waitcnt vmcnt(0)                                 // lgkmcnt=-1 vmcnt=0wait for global read before writing to local
_ds_store_b32 v[vgprLocalWriteAddrB], v[vgprG2LB+20] offset:21120 // lwoB_0_0_20_0 = (0*LSCB)*(MT1J+PAD) + (20*LSPB) = 21120
v_mfma_f32_16x16x16_bf16 a[100+0:103+0], v[vgprValuB_X1_I0+12+0+0:vgprValuB_X1_I0+12+0+0+1], v[vgprValuA_X7_I0+2+0+0:vgprValuA_X7_I0+2+0+0+1], a[100:103]
/*  mfmaIndex:218  */
/* sched write - iter 3 writesPerItem=1 */
s_waitcnt vmcnt(0)                                 // lgkmcnt=-1 vmcnt=0wait for global read before writing to local
_ds_store_b32 v[vgprLocalWriteAddrB], v[vgprG2LB+21] offset:22176 // lwoB_0_0_21_0 = (0*LSCB)*(MT1J+PAD) + (21*LSPB) = 22176
v_mfma_f32_16x16x16_bf16 a[104+0:107+0], v[vgprValuB_X1_I0+12+0+0:vgprValuB_X1_I0+12+0+0+1], v[vgprValuA_X7_I0+4+0+0:vgprValuA_X7_I0+4+0+0+1], a[104:107]
/*  mfmaIndex:219  */
/* sched write - iter 3 writesPerItem=1 */
s_waitcnt vmcnt(0)                                 // lgkmcnt=-1 vmcnt=0wait for global read before writing to local
_ds_store_b32 v[vgprLocalWriteAddrB], v[vgprG2LB+22] offset:23232 // lwoB_0_0_22_0 = (0*LSCB)*(MT1J+PAD) + (22*LSPB) = 23232
v_mfma_f32_16x16x16_bf16 a[108+0:111+0], v[vgprValuB_X1_I0+12+0+0:vgprValuB_X1_I0+12+0+0+1], v[vgprValuA_X7_I0+6+0+0:vgprValuA_X7_I0+6+0+0+1], a[108:111]
/*  mfmaIndex:220  */
/* sched write - iter 3 writesPerItem=1 */
s_waitcnt vmcnt(0)                                 // lgkmcnt=-1 vmcnt=0wait for global read before writing to local
_ds_store_b32 v[vgprLocalWriteAddrB], v[vgprG2LB+23] offset:24288 // lwoB_0_0_23_0 = (0*LSCB)*(MT1J+PAD) + (23*LSPB) = 24288
v_mfma_f32_16x16x16_bf16 a[124+0:127+0], v[vgprValuB_X1_I0+14+0+0:vgprValuB_X1_I0+14+0+0+1], v[vgprValuA_X7_I0+6+0+0:vgprValuA_X7_I0+6+0+0+1], a[124:127]
/*  mfmaIndex:221  */
/* sched write - iter 3 writesPerItem=1 */
s_waitcnt vmcnt(0)                                 // lgkmcnt=-1 vmcnt=0wait for global read before writing to local
_ds_store_b32 v[vgprLocalWriteAddrB], v[vgprG2LB+24] offset:25344 // lwoB_0_0_24_0 = (0*LSCB)*(MT1J+PAD) + (24*LSPB) = 25344
v_mfma_f32_16x16x16_bf16 a[120+0:123+0], v[vgprValuB_X1_I0+14+0+0:vgprValuB_X1_I0+14+0+0+1], v[vgprValuA_X7_I0+4+0+0:vgprValuA_X7_I0+4+0+0+1], a[120:123]
/*  mfmaIndex:222  */
/* sched write - iter 3 writesPerItem=1 */
s_waitcnt vmcnt(0)                                 // lgkmcnt=-1 vmcnt=0wait for global read before writing to local
_ds_store_b32 v[vgprLocalWriteAddrB], v[vgprG2LB+25] offset:26400 // lwoB_0_0_25_0 = (0*LSCB)*(MT1J+PAD) + (25*LSPB) = 26400
v_mfma_f32_16x16x16_bf16 a[116+0:119+0], v[vgprValuB_X1_I0+14+0+0:vgprValuB_X1_I0+14+0+0+1], v[vgprValuA_X7_I0+2+0+0:vgprValuA_X7_I0+2+0+0+1], a[116:119]
/*  mfmaIndex:223  */
/* sched write - iter 3 writesPerItem=1 */
s_waitcnt vmcnt(0)                                 // lgkmcnt=-1 vmcnt=0wait for global read before writing to local
_ds_store_b32 v[vgprLocalWriteAddrB], v[vgprG2LB+26] offset:27456 // lwoB_0_0_26_0 = (0*LSCB)*(MT1J+PAD) + (26*LSPB) = 27456
v_mfma_f32_16x16x16_bf16 a[112+0:115+0], v[vgprValuB_X1_I0+14+0+0:vgprValuB_X1_I0+14+0+0+1], v[vgprValuA_X7_I0+0+0+0:vgprValuA_X7_I0+0+0+0+1], a[112:115]
/*  mfmaIndex:224  */
/* sched write - iter 3 writesPerItem=1 */
s_waitcnt vmcnt(0)                                 // lgkmcnt=-1 vmcnt=0wait for global read before writing to local
_ds_store_b32 v[vgprLocalWriteAddrB], v[vgprG2LB+27] offset:28512 // lwoB_0_0_27_0 = (0*LSCB)*(MT1J+PAD) + (27*LSPB) = 28512
v_mfma_f32_16x16x16_bf16 a[128+0:131+0], v[vgprValuB_X1_I0+16+0+0:vgprValuB_X1_I0+16+0+0+1], v[vgprValuA_X7_I0+0+0+0:vgprValuA_X7_I0+0+0+0+1], a[128:131]
/*  mfmaIndex:225  */
/* sched write - iter 3 writesPerItem=1 */
s_waitcnt vmcnt(0)                                 // lgkmcnt=-1 vmcnt=0wait for global read before writing to local
_ds_store_b32 v[vgprLocalWriteAddrB], v[vgprG2LB+28] offset:29568 // lwoB_0_0_28_0 = (0*LSCB)*(MT1J+PAD) + (28*LSPB) = 29568
v_mfma_f32_16x16x16_bf16 a[132+0:135+0], v[vgprValuB_X1_I0+16+0+0:vgprValuB_X1_I0+16+0+0+1], v[vgprValuA_X7_I0+2+0+0:vgprValuA_X7_I0+2+0+0+1], a[132:135]
/*  mfmaIndex:226  */
/* sched write - iter 3 writesPerItem=1 */
s_waitcnt vmcnt(0)                                 // lgkmcnt=-1 vmcnt=0wait for global read before writing to local
_ds_store_b32 v[vgprLocalWriteAddrB], v[vgprG2LB+29] offset:30624 // lwoB_0_0_29_0 = (0*LSCB)*(MT1J+PAD) + (29*LSPB) = 30624
v_mfma_f32_16x16x16_bf16 a[136+0:139+0], v[vgprValuB_X1_I0+16+0+0:vgprValuB_X1_I0+16+0+0+1], v[vgprValuA_X7_I0+4+0+0:vgprValuA_X7_I0+4+0+0+1], a[136:139]
/*  mfmaIndex:227  */
/* sched write - iter 3 writesPerItem=1 */
s_waitcnt vmcnt(0)                                 // lgkmcnt=-1 vmcnt=0wait for global read before writing to local
_ds_store_b32 v[vgprLocalWriteAddrB], v[vgprG2LB+30] offset:31680 // lwoB_0_0_30_0 = (0*LSCB)*(MT1J+PAD) + (30*LSPB) = 31680
v_mfma_f32_16x16x16_bf16 a[140+0:143+0], v[vgprValuB_X1_I0+16+0+0:vgprValuB_X1_I0+16+0+0+1], v[vgprValuA_X7_I0+6+0+0:vgprValuA_X7_I0+6+0+0+1], a[140:143]
/*  mfmaIndex:228  */
/* sched write - iter 3 writesPerItem=1 */
s_waitcnt vmcnt(0)                                 // lgkmcnt=-1 vmcnt=0wait for global read before writing to local
_ds_store_b32 v[vgprLocalWriteAddrB], v[vgprG2LB+31] offset:32736 // lwoB_0_0_31_0 = (0*LSCB)*(MT1J+PAD) + (31*LSPB) = 32736

/* local write swap offsets a */

/* local write swap offsets b */
v_mfma_f32_16x16x16_bf16 a[156+0:159+0], v[vgprValuB_X1_I0+18+0+0:vgprValuB_X1_I0+18+0+0+1], v[vgprValuA_X7_I0+6+0+0:vgprValuA_X7_I0+6+0+0+1], a[156:159]
/*  mfmaIndex:229  */
v_mfma_f32_16x16x16_bf16 a[152+0:155+0], v[vgprValuB_X1_I0+18+0+0:vgprValuB_X1_I0+18+0+0+1], v[vgprValuA_X7_I0+4+0+0:vgprValuA_X7_I0+4+0+0+1], a[152:155]
/*  mfmaIndex:230  */
	;; [unrolled: 2-line block ×6, first 2 shown]
s_waitcnt lgkmcnt(0)                               // lgkmcnt=0 vmcnt=-13wait for local write
s_barrier
v_mfma_f32_16x16x16_bf16 a[168+0:171+0], v[vgprValuB_X1_I0+20+0+0:vgprValuB_X1_I0+20+0+0+1], v[vgprValuA_X7_I0+4+0+0:vgprValuA_X7_I0+4+0+0+1], a[168:171]
/*  mfmaIndex:235  */
s_setprio 3                                        // store optimization
_ds_load_b64 v[vgprValuB_X0_I0+0:vgprValuB_X0_I0+0+1], v[vgprLocalReadAddrB] offset:0 // L -> Reg lro=0 swapByteOffset=0 ti=32 vIdx=0 rIdx=0 oIdx=0 buffer=0 iui=0
v_mfma_f32_16x16x16_bf16 a[172+0:175+0], v[vgprValuB_X1_I0+20+0+0:vgprValuB_X1_I0+20+0+0+1], v[vgprValuA_X7_I0+6+0+0:vgprValuA_X7_I0+6+0+0+1], a[172:175]
/*  mfmaIndex:236  */
_ds_load_b64 v[vgprValuB_X0_I0+2:vgprValuB_X0_I0+2+1], v[vgprLocalReadAddrB] offset:128 // L -> Reg lro=0 swapByteOffset=0 ti=32 vIdx=0 rIdx=0 oIdx=0 buffer=0 iui=0
v_mfma_f32_16x16x16_bf16 a[188+0:191+0], v[vgprValuB_X1_I0+22+0+0:vgprValuB_X1_I0+22+0+0+1], v[vgprValuA_X7_I0+6+0+0:vgprValuA_X7_I0+6+0+0+1], a[188:191]
/*  mfmaIndex:237  */
	;; [unrolled: 3-line block ×16, first 2 shown]
v_mfma_f32_16x16x16_bf16 a[236+0:239+0], v[vgprValuB_X1_I0+28+0+0:vgprValuB_X1_I0+28+0+0+1], v[vgprValuA_X7_I0+6+0+0:vgprValuA_X7_I0+6+0+0+1], a[236:239]
/*  mfmaIndex:252  */
v_mfma_f32_16x16x16_bf16 a[252+0:255+0], v[vgprValuB_X1_I0+30+0+0:vgprValuB_X1_I0+30+0+0+1], v[vgprValuA_X7_I0+6+0+0:vgprValuA_X7_I0+6+0+0+1], a[252:255]
/*  mfmaIndex:253  */
	;; [unrolled: 2-line block ×4, first 2 shown]
v_mfma_f32_16x16x16_bf16 a[240+0:243+0], v[vgprValuB_X1_I0+30+0+0:vgprValuB_X1_I0+30+0+0+1], v[vgprValuA_X7_I0+0+0+0:vgprValuA_X7_I0+0+0+0+1], a[240:243]
s_setprio 0                                        // store optimization
/* numPrefetchIter=1 */
/* dataAtIterA=2 numReadsIterA=3 skipReadsIterA=1 readsPerIterA=1 */
/* dataAtIterB=2 numReadsIterB=3 skipReadsIterB=1 readsPerIterB=16 */


/******************************************/
/* Unrolled Loop - End 2/2 (final)        */
/******************************************/


/* closeLoop loopL finalLoop=1 tailLoop=0 */
s_sub_u32 s[sgprLoopCounterL], s[sgprLoopCounterL], 1 // dec counterL
s_cmp_eq_i32 s[sgprLoopCounterL], 0x1              // counterL==1
s_cbranch_scc0 LoopBeginL_1                        // restart LoopL
LoopEndL_evenexit_4: // unroll loop eveniter exit
s_branch LoopEndL_2                                // exit unroll loopL (and skip second exit code)
LoopEndL_oddexit_3: // unroll loop odditer exit

/* Select high bank of LDS */
LoopEndL_2:


/* Before NLL: Check VGPR.checkin for INT8 LW */


/******************************************/
/* Opt. NoLoadLoop Without PAP - Begin                                      */
/******************************************/

s_cmpk_eq_u32 s[sgprBeta], 0x0                     // Beta == 0
s_cbranch_scc0 OptNLL_End_15                       // Branch if Beta is not zero

s_cmp_eq_u32 s[sgprAlpha], 1.0                     // Alpha == 1.0 ?
s_cbranch_scc0 OptNLL_End_15                       // branch if alpha != 1

s_and_b32 s56, 255, s[sgprSizeI]                   // s56 = s[sgprSizeI] % 256
s_add_u32 s57, -0x1, s[sgprNumWorkGroups0]         // 
s_cmp_ge_u32 s[sgprWorkGroup0], s57                // wg0 >= nwg0-1 ?
s_cselect_b32 s56, s56, 0                          // set rMT0
s_cmpk_gt_u32 s56, 0x0                             // rMT0 > 0
s_cbranch_scc1 OptNLL_End_15                       // jump if edges required
s_and_b32 s56, 255, s[sgprSizeJ]                   // s56 = s[sgprSizeJ] % 256
s_add_u32 s57, -0x1, s[sgprNumWorkGroups1]         // 
s_cmp_ge_u32 s[sgprWorkGroup1], s57                // wg1 >= nwg1-1
s_cselect_b32 s56, s56, 0                          // set rMT1
s_cmpk_gt_u32 s56, 0x0                             // rMT1 > 0
s_cbranch_scc1 OptNLL_End_15                       // jump if edges required

s_and_b32 s57, 63, s[sgprSizesSum+0]               // s57 = s[sgprSizesSum+0] % 64
s_cmp_eq_u32 s57, 0x0                              // numIterL == 0
s_cbranch_scc0 OptNLL_End_15                       // skip if tail loop required

s_and_b32 s33, s[sgprOrigLoopCounter], 1           // test if OrigLoopCounter is Odd ?
s_cbranch_scc0 label_0016                          // Skip odd code if OrigLoopCounter is Even


	;; [unrolled: 1-line block ×3, first 2 shown]
/* iter 0 (last unrolled loop) */

s_waitcnt vmcnt(12)                                // lgkmcnt=-1 vmcnt=12global read wait for DirectToVgpr

/*  grEndMfmaIndex:0, lwStartMfmaIndex:228, lwEndMfmaIndex:228  */
/*  numMfmaForLR:21, barrierMfmaIndex:234 */
/*  mfmaIndex:0  */
s_waitcnt lgkmcnt(0)                               // lgkmcnt=0 vmcnt=-1wait for prior local read local write old=0, new=0 newLW=0 newLR=0
/* pack scheduling: packAIdx:2, packBIdx:0 */
v_perm_b32 v[vgprValuA_X0_I0+0], v[vgprValuA_X0_I0_D1+0], v[vgprValuA_X0_I0_D0+0], s[sgprPackKForV0] // select K=01 for vector=0
v_perm_b32 v[vgprValuA_X0_I0+1], v[vgprValuA_X0_I0_D3+0], v[vgprValuA_X0_I0_D2+0], s[sgprPackKForV0] // select K=23 for vector=0
v_perm_b32 v[vgprValuA_X0_I0+2], v[vgprValuA_X0_I0_D1+0], v[vgprValuA_X0_I0_D0+0], s[sgprPackKForV1] // select K=01 for vector=1
v_perm_b32 v[vgprValuA_X0_I0+3], v[vgprValuA_X0_I0_D3+0], v[vgprValuA_X0_I0_D2+0], s[sgprPackKForV1] // select K=23 for vector=1
v_mfma_f32_16x16x16_bf16 a[0+0:3+0], v[vgprValuB_X0_I0+0+0+0:vgprValuB_X0_I0+0+0+0+1], v[vgprValuA_X0_I0+0+0+0:vgprValuA_X0_I0+0+0+0+1], a[0:3]
/*  mfmaIndex:1  */
_ds_load_b64 v[vgprValuB_X1_I0+0:vgprValuB_X1_I0+0+1], v[vgprLocalReadAddrB] offset:32 // L -> Reg lro=16 swapByteOffset=0 ti=32 vIdx=0 rIdx=0 oIdx=0 buffer=1 iui=0
s_setprio 3                                        // store optimization
/* pack scheduling: packAIdx:4, packBIdx:0 */
v_perm_b32 v[vgprValuA_X0_I0+4], v[vgprValuA_X0_I0_D1+1], v[vgprValuA_X0_I0_D0+1], s[sgprPackKForV0] // select K=01 for vector=0
v_perm_b32 v[vgprValuA_X0_I0+5], v[vgprValuA_X0_I0_D3+1], v[vgprValuA_X0_I0_D2+1], s[sgprPackKForV0] // select K=23 for vector=0
v_mfma_f32_16x16x16_bf16 a[4+0:7+0], v[vgprValuB_X0_I0+0+0+0:vgprValuB_X0_I0+0+0+0+1], v[vgprValuA_X0_I0+2+0+0:vgprValuA_X0_I0+2+0+0+1], a[4:7]
/*  mfmaIndex:2  */
_ds_load_b64 v[vgprValuB_X1_I0+2:vgprValuB_X1_I0+2+1], v[vgprLocalReadAddrB] offset:160 // L -> Reg lro=16 swapByteOffset=0 ti=32 vIdx=0 rIdx=0 oIdx=0 buffer=1 iui=0
/* pack scheduling: packAIdx:6, packBIdx:0 */
v_perm_b32 v[vgprValuA_X0_I0+6], v[vgprValuA_X0_I0_D1+1], v[vgprValuA_X0_I0_D0+1], s[sgprPackKForV1] // select K=01 for vector=1
v_perm_b32 v[vgprValuA_X0_I0+7], v[vgprValuA_X0_I0_D3+1], v[vgprValuA_X0_I0_D2+1], s[sgprPackKForV1] // select K=23 for vector=1
v_mfma_f32_16x16x16_bf16 a[8+0:11+0], v[vgprValuB_X0_I0+0+0+0:vgprValuB_X0_I0+0+0+0+1], v[vgprValuA_X0_I0+4+0+0:vgprValuA_X0_I0+4+0+0+1], a[8:11]
/*  mfmaIndex:3  */
_ds_load_b64 v[vgprValuB_X1_I0+4:vgprValuB_X1_I0+4+1], v[vgprLocalReadAddrB] offset:4256 // L -> Reg lro=16 swapByteOffset=0 ti=32 vIdx=1 rIdx=0 oIdx=0 buffer=1 iui=0
v_mfma_f32_16x16x16_bf16 a[12+0:15+0], v[vgprValuB_X0_I0+0+0+0:vgprValuB_X0_I0+0+0+0+1], v[vgprValuA_X0_I0+6+0+0:vgprValuA_X0_I0+6+0+0+1], a[12:15]
/*  mfmaIndex:4  */
_ds_load_b64 v[vgprValuB_X1_I0+6:vgprValuB_X1_I0+6+1], v[vgprLocalReadAddrB] offset:4384 // L -> Reg lro=16 swapByteOffset=0 ti=32 vIdx=1 rIdx=0 oIdx=0 buffer=1 iui=0
	;; [unrolled: 3-line block ×14, first 2 shown]
v_mfma_f32_16x16x16_bf16 a[64+0:67+0], v[vgprValuB_X0_I0+8+0+0:vgprValuB_X0_I0+8+0+0+1], v[vgprValuA_X0_I0+0+0+0:vgprValuA_X0_I0+0+0+0+1], a[64:67]
/*  mfmaIndex:17  */
/* localReadsVacancy: latencyLeft 2 */
v_mfma_f32_16x16x16_bf16 a[68+0:71+0], v[vgprValuB_X0_I0+8+0+0:vgprValuB_X0_I0+8+0+0+1], v[vgprValuA_X0_I0+2+0+0:vgprValuA_X0_I0+2+0+0+1], a[68:71]
/*  mfmaIndex:18  */
/* localReadsVacancy: latencyLeft 2 */
	;; [unrolled: 3-line block ×47, first 2 shown]
v_mfma_f32_16x16x16_bf16 a[240+0:243+0], v[vgprValuB_X0_I0+30+0+0:vgprValuB_X0_I0+30+0+0+1], v[vgprValuA_X0_I0+0+0+0:vgprValuA_X0_I0+0+0+0+1], a[240:243]
/* numPrefetchIter=0 */
/* dataAtIterA=-1 numReadsIterA=1 skipReadsIterA=1 readsPerIterA=1 */
/* dataAtIterB=-1 numReadsIterB=1 skipReadsIterB=1 readsPerIterB=16 */


/* iter 1 (last unrolled loop) */

s_waitcnt vmcnt(8)                                 // lgkmcnt=-1 vmcnt=8global read wait for DirectToVgpr

/*  grEndMfmaIndex:0, lwStartMfmaIndex:228, lwEndMfmaIndex:228  */
/*  numMfmaForLR:21, barrierMfmaIndex:234 */
/*  mfmaIndex:64  */
_ds_load_b64 v[vgprValuB_X0_I0+0:vgprValuB_X0_I0+0+1], v[vgprLocalReadAddrB] offset:64 // L -> Reg lro=32 swapByteOffset=0 ti=32 vIdx=0 rIdx=0 oIdx=0 buffer=0 iui=0
s_waitcnt lgkmcnt(1)                               // lgkmcnt=0 vmcnt=-1wait for prior local read local write old=0, new=1 newLW=0 newLR=1
/* pack scheduling: packAIdx:2, packBIdx:0 */
v_perm_b32 v[vgprValuA_X1_I0+0], v[vgprValuA_X1_I0_D1+0], v[vgprValuA_X1_I0_D0+0], s[sgprPackKForV0] // select K=01 for vector=0
v_perm_b32 v[vgprValuA_X1_I0+1], v[vgprValuA_X1_I0_D3+0], v[vgprValuA_X1_I0_D2+0], s[sgprPackKForV0] // select K=23 for vector=0
v_perm_b32 v[vgprValuA_X1_I0+2], v[vgprValuA_X1_I0_D1+0], v[vgprValuA_X1_I0_D0+0], s[sgprPackKForV1] // select K=01 for vector=1
v_perm_b32 v[vgprValuA_X1_I0+3], v[vgprValuA_X1_I0_D3+0], v[vgprValuA_X1_I0_D2+0], s[sgprPackKForV1] // select K=23 for vector=1
v_mfma_f32_16x16x16_bf16 a[0+0:3+0], v[vgprValuB_X1_I0+0+0+0:vgprValuB_X1_I0+0+0+0+1], v[vgprValuA_X1_I0+0+0+0:vgprValuA_X1_I0+0+0+0+1], a[0:3]
/*  mfmaIndex:65  */
_ds_load_b64 v[vgprValuB_X0_I0+2:vgprValuB_X0_I0+2+1], v[vgprLocalReadAddrB] offset:192 // L -> Reg lro=32 swapByteOffset=0 ti=32 vIdx=0 rIdx=0 oIdx=0 buffer=0 iui=0
/* pack scheduling: packAIdx:4, packBIdx:0 */
v_perm_b32 v[vgprValuA_X1_I0+4], v[vgprValuA_X1_I0_D1+1], v[vgprValuA_X1_I0_D0+1], s[sgprPackKForV0] // select K=01 for vector=0
v_perm_b32 v[vgprValuA_X1_I0+5], v[vgprValuA_X1_I0_D3+1], v[vgprValuA_X1_I0_D2+1], s[sgprPackKForV0] // select K=23 for vector=0
v_mfma_f32_16x16x16_bf16 a[4+0:7+0], v[vgprValuB_X1_I0+0+0+0:vgprValuB_X1_I0+0+0+0+1], v[vgprValuA_X1_I0+2+0+0:vgprValuA_X1_I0+2+0+0+1], a[4:7]
/*  mfmaIndex:66  */
_ds_load_b64 v[vgprValuB_X0_I0+4:vgprValuB_X0_I0+4+1], v[vgprLocalReadAddrB] offset:4288 // L -> Reg lro=32 swapByteOffset=0 ti=32 vIdx=1 rIdx=0 oIdx=0 buffer=0 iui=0
/* pack scheduling: packAIdx:6, packBIdx:0 */
v_perm_b32 v[vgprValuA_X1_I0+6], v[vgprValuA_X1_I0_D1+1], v[vgprValuA_X1_I0_D0+1], s[sgprPackKForV1] // select K=01 for vector=1
v_perm_b32 v[vgprValuA_X1_I0+7], v[vgprValuA_X1_I0_D3+1], v[vgprValuA_X1_I0_D2+1], s[sgprPackKForV1] // select K=23 for vector=1
v_mfma_f32_16x16x16_bf16 a[8+0:11+0], v[vgprValuB_X1_I0+0+0+0:vgprValuB_X1_I0+0+0+0+1], v[vgprValuA_X1_I0+4+0+0:vgprValuA_X1_I0+4+0+0+1], a[8:11]
/*  mfmaIndex:67  */
_ds_load_b64 v[vgprValuB_X0_I0+6:vgprValuB_X0_I0+6+1], v[vgprLocalReadAddrB] offset:4416 // L -> Reg lro=32 swapByteOffset=0 ti=32 vIdx=1 rIdx=0 oIdx=0 buffer=0 iui=0
v_mfma_f32_16x16x16_bf16 a[12+0:15+0], v[vgprValuB_X1_I0+0+0+0:vgprValuB_X1_I0+0+0+0+1], v[vgprValuA_X1_I0+6+0+0:vgprValuA_X1_I0+6+0+0+1], a[12:15]
/*  mfmaIndex:68  */
_ds_load_b64 v[vgprValuB_X0_I0+8:vgprValuB_X0_I0+8+1], v[vgprLocalReadAddrB] offset:8512 // L -> Reg lro=32 swapByteOffset=0 ti=32 vIdx=2 rIdx=0 oIdx=0 buffer=0 iui=0
	;; [unrolled: 3-line block ×13, first 2 shown]
v_mfma_f32_16x16x16_bf16 a[48+0:51+0], v[vgprValuB_X1_I0+6+0+0:vgprValuB_X1_I0+6+0+0+1], v[vgprValuA_X1_I0+0+0+0:vgprValuA_X1_I0+0+0+0+1], a[48:51]
/*  mfmaIndex:80  */
/* localReadsVacancy: latencyLeft 2 */
v_mfma_f32_16x16x16_bf16 a[64+0:67+0], v[vgprValuB_X1_I0+8+0+0:vgprValuB_X1_I0+8+0+0+1], v[vgprValuA_X1_I0+0+0+0:vgprValuA_X1_I0+0+0+0+1], a[64:67]
/*  mfmaIndex:81  */
/* localReadsVacancy: latencyLeft 2 */
	;; [unrolled: 3-line block ×48, first 2 shown]
v_mfma_f32_16x16x16_bf16 a[240+0:243+0], v[vgprValuB_X1_I0+30+0+0:vgprValuB_X1_I0+30+0+0+1], v[vgprValuA_X1_I0+0+0+0:vgprValuA_X1_I0+0+0+0+1], a[240:243]
s_setprio 0                                        // store optimization
/* numPrefetchIter=0 */
/* dataAtIterA=0 numReadsIterA=2 skipReadsIterA=1 readsPerIterA=1 */
/* dataAtIterB=0 numReadsIterB=2 skipReadsIterB=1 readsPerIterB=16 */


/* iter 2 (last unrolled loop) */

s_waitcnt vmcnt(4)                                 // lgkmcnt=-1 vmcnt=4global read wait for DirectToVgpr

/*  grEndMfmaIndex:0, lwStartMfmaIndex:228, lwEndMfmaIndex:228  */
/*  numMfmaForLR:21, barrierMfmaIndex:234 */
/*  mfmaIndex:128  */
_ds_load_b64 v[vgprValuB_X1_I0+0:vgprValuB_X1_I0+0+1], v[vgprLocalReadAddrB] offset:96 // L -> Reg lro=48 swapByteOffset=0 ti=32 vIdx=0 rIdx=0 oIdx=0 buffer=1 iui=0
s_waitcnt lgkmcnt(1)                               // lgkmcnt=0 vmcnt=-1wait for prior local read local write old=0, new=1 newLW=0 newLR=1
/* pack scheduling: packAIdx:2, packBIdx:0 */
v_perm_b32 v[vgprValuA_X2_I0+0], v[vgprValuA_X2_I0_D1+0], v[vgprValuA_X2_I0_D0+0], s[sgprPackKForV0] // select K=01 for vector=0
v_perm_b32 v[vgprValuA_X2_I0+1], v[vgprValuA_X2_I0_D3+0], v[vgprValuA_X2_I0_D2+0], s[sgprPackKForV0] // select K=23 for vector=0
v_perm_b32 v[vgprValuA_X2_I0+2], v[vgprValuA_X2_I0_D1+0], v[vgprValuA_X2_I0_D0+0], s[sgprPackKForV1] // select K=01 for vector=1
v_perm_b32 v[vgprValuA_X2_I0+3], v[vgprValuA_X2_I0_D3+0], v[vgprValuA_X2_I0_D2+0], s[sgprPackKForV1] // select K=23 for vector=1
v_mfma_f32_16x16x16_bf16 a[0+0:3+0], v[vgprValuB_X0_I0+0+0+0:vgprValuB_X0_I0+0+0+0+1], v[vgprValuA_X2_I0+0+0+0:vgprValuA_X2_I0+0+0+0+1], a[0:3]
/*  mfmaIndex:129  */
_ds_load_b64 v[vgprValuB_X1_I0+2:vgprValuB_X1_I0+2+1], v[vgprLocalReadAddrB] offset:224 // L -> Reg lro=48 swapByteOffset=0 ti=32 vIdx=0 rIdx=0 oIdx=0 buffer=1 iui=0
/* pack scheduling: packAIdx:4, packBIdx:0 */
v_perm_b32 v[vgprValuA_X2_I0+4], v[vgprValuA_X2_I0_D1+1], v[vgprValuA_X2_I0_D0+1], s[sgprPackKForV0] // select K=01 for vector=0
v_perm_b32 v[vgprValuA_X2_I0+5], v[vgprValuA_X2_I0_D3+1], v[vgprValuA_X2_I0_D2+1], s[sgprPackKForV0] // select K=23 for vector=0
v_mfma_f32_16x16x16_bf16 a[4+0:7+0], v[vgprValuB_X0_I0+0+0+0:vgprValuB_X0_I0+0+0+0+1], v[vgprValuA_X2_I0+2+0+0:vgprValuA_X2_I0+2+0+0+1], a[4:7]
/*  mfmaIndex:130  */
_ds_load_b64 v[vgprValuB_X1_I0+4:vgprValuB_X1_I0+4+1], v[vgprLocalReadAddrB] offset:4320 // L -> Reg lro=48 swapByteOffset=0 ti=32 vIdx=1 rIdx=0 oIdx=0 buffer=1 iui=0
/* pack scheduling: packAIdx:6, packBIdx:0 */
v_perm_b32 v[vgprValuA_X2_I0+6], v[vgprValuA_X2_I0_D1+1], v[vgprValuA_X2_I0_D0+1], s[sgprPackKForV1] // select K=01 for vector=1
v_perm_b32 v[vgprValuA_X2_I0+7], v[vgprValuA_X2_I0_D3+1], v[vgprValuA_X2_I0_D2+1], s[sgprPackKForV1] // select K=23 for vector=1
v_mfma_f32_16x16x16_bf16 a[8+0:11+0], v[vgprValuB_X0_I0+0+0+0:vgprValuB_X0_I0+0+0+0+1], v[vgprValuA_X2_I0+4+0+0:vgprValuA_X2_I0+4+0+0+1], a[8:11]
/*  mfmaIndex:131  */
_ds_load_b64 v[vgprValuB_X1_I0+6:vgprValuB_X1_I0+6+1], v[vgprLocalReadAddrB] offset:4448 // L -> Reg lro=48 swapByteOffset=0 ti=32 vIdx=1 rIdx=0 oIdx=0 buffer=1 iui=0
v_mfma_f32_16x16x16_bf16 a[12+0:15+0], v[vgprValuB_X0_I0+0+0+0:vgprValuB_X0_I0+0+0+0+1], v[vgprValuA_X2_I0+6+0+0:vgprValuA_X2_I0+6+0+0+1], a[12:15]
/*  mfmaIndex:132  */
_ds_load_b64 v[vgprValuB_X1_I0+8:vgprValuB_X1_I0+8+1], v[vgprLocalReadAddrB] offset:8544 // L -> Reg lro=48 swapByteOffset=0 ti=32 vIdx=2 rIdx=0 oIdx=0 buffer=1 iui=0
	;; [unrolled: 3-line block ×13, first 2 shown]
v_mfma_f32_16x16x16_bf16 a[48+0:51+0], v[vgprValuB_X0_I0+6+0+0:vgprValuB_X0_I0+6+0+0+1], v[vgprValuA_X2_I0+0+0+0:vgprValuA_X2_I0+0+0+0+1], a[48:51]
/*  mfmaIndex:144  */
/* localReadsVacancy: latencyLeft 2 */
v_mfma_f32_16x16x16_bf16 a[64+0:67+0], v[vgprValuB_X0_I0+8+0+0:vgprValuB_X0_I0+8+0+0+1], v[vgprValuA_X2_I0+0+0+0:vgprValuA_X2_I0+0+0+0+1], a[64:67]
/*  mfmaIndex:145  */
/* localReadsVacancy: latencyLeft 2 */
v_mfma_f32_16x16x16_bf16 a[68+0:71+0], v[vgprValuB_X0_I0+8+0+0:vgprValuB_X0_I0+8+0+0+1], v[vgprValuA_X2_I0+2+0+0:vgprValuA_X2_I0+2+0+0+1], a[68:71]
/*  mfmaIndex:146  */
/* localReadsVacancy: latencyLeft 2 */
v_mfma_f32_16x16x16_bf16 a[72+0:75+0], v[vgprValuB_X0_I0+8+0+0:vgprValuB_X0_I0+8+0+0+1], v[vgprValuA_X2_I0+4+0+0:vgprValuA_X2_I0+4+0+0+1], a[72:75]
/*  mfmaIndex:147  */
/* localReadsVacancy: latencyLeft 2 */
v_mfma_f32_16x16x16_bf16 a[76+0:79+0], v[vgprValuB_X0_I0+8+0+0:vgprValuB_X0_I0+8+0+0+1], v[vgprValuA_X2_I0+6+0+0:vgprValuA_X2_I0+6+0+0+1], a[76:79]
/*  mfmaIndex:148  */
/* localReadsVacancy: latencyLeft 2 */
v_mfma_f32_16x16x16_bf16 a[92+0:95+0], v[vgprValuB_X0_I0+10+0+0:vgprValuB_X0_I0+10+0+0+1], v[vgprValuA_X2_I0+6+0+0:vgprValuA_X2_I0+6+0+0+1], a[92:95]
/*  mfmaIndex:149  */
/* localReadsVacancy: latencyLeft 2 */
v_mfma_f32_16x16x16_bf16 a[88+0:91+0], v[vgprValuB_X0_I0+10+0+0:vgprValuB_X0_I0+10+0+0+1], v[vgprValuA_X2_I0+4+0+0:vgprValuA_X2_I0+4+0+0+1], a[88:91]
/*  mfmaIndex:150  */
/* localReadsVacancy: latencyLeft 2 */
v_mfma_f32_16x16x16_bf16 a[84+0:87+0], v[vgprValuB_X0_I0+10+0+0:vgprValuB_X0_I0+10+0+0+1], v[vgprValuA_X2_I0+2+0+0:vgprValuA_X2_I0+2+0+0+1], a[84:87]
/*  mfmaIndex:151  */
/* localReadsVacancy: latencyLeft 2 */
v_mfma_f32_16x16x16_bf16 a[80+0:83+0], v[vgprValuB_X0_I0+10+0+0:vgprValuB_X0_I0+10+0+0+1], v[vgprValuA_X2_I0+0+0+0:vgprValuA_X2_I0+0+0+0+1], a[80:83]
/*  mfmaIndex:152  */
/* localReadsVacancy: latencyLeft 2 */
v_mfma_f32_16x16x16_bf16 a[96+0:99+0], v[vgprValuB_X0_I0+12+0+0:vgprValuB_X0_I0+12+0+0+1], v[vgprValuA_X2_I0+0+0+0:vgprValuA_X2_I0+0+0+0+1], a[96:99]
/*  mfmaIndex:153  */
/* localReadsVacancy: latencyLeft 2 */
v_mfma_f32_16x16x16_bf16 a[100+0:103+0], v[vgprValuB_X0_I0+12+0+0:vgprValuB_X0_I0+12+0+0+1], v[vgprValuA_X2_I0+2+0+0:vgprValuA_X2_I0+2+0+0+1], a[100:103]
/*  mfmaIndex:154  */
/* localReadsVacancy: latencyLeft 2 */
v_mfma_f32_16x16x16_bf16 a[104+0:107+0], v[vgprValuB_X0_I0+12+0+0:vgprValuB_X0_I0+12+0+0+1], v[vgprValuA_X2_I0+4+0+0:vgprValuA_X2_I0+4+0+0+1], a[104:107]
/*  mfmaIndex:155  */
/* localReadsVacancy: latencyLeft 2 */
v_mfma_f32_16x16x16_bf16 a[108+0:111+0], v[vgprValuB_X0_I0+12+0+0:vgprValuB_X0_I0+12+0+0+1], v[vgprValuA_X2_I0+6+0+0:vgprValuA_X2_I0+6+0+0+1], a[108:111]
/*  mfmaIndex:156  */
/* localReadsVacancy: latencyLeft 2 */
v_mfma_f32_16x16x16_bf16 a[124+0:127+0], v[vgprValuB_X0_I0+14+0+0:vgprValuB_X0_I0+14+0+0+1], v[vgprValuA_X2_I0+6+0+0:vgprValuA_X2_I0+6+0+0+1], a[124:127]
/*  mfmaIndex:157  */
/* localReadsVacancy: latencyLeft 2 */
v_mfma_f32_16x16x16_bf16 a[120+0:123+0], v[vgprValuB_X0_I0+14+0+0:vgprValuB_X0_I0+14+0+0+1], v[vgprValuA_X2_I0+4+0+0:vgprValuA_X2_I0+4+0+0+1], a[120:123]
/*  mfmaIndex:158  */
/* localReadsVacancy: latencyLeft 2 */
v_mfma_f32_16x16x16_bf16 a[116+0:119+0], v[vgprValuB_X0_I0+14+0+0:vgprValuB_X0_I0+14+0+0+1], v[vgprValuA_X2_I0+2+0+0:vgprValuA_X2_I0+2+0+0+1], a[116:119]
/*  mfmaIndex:159  */
/* localReadsVacancy: latencyLeft 2 */
v_mfma_f32_16x16x16_bf16 a[112+0:115+0], v[vgprValuB_X0_I0+14+0+0:vgprValuB_X0_I0+14+0+0+1], v[vgprValuA_X2_I0+0+0+0:vgprValuA_X2_I0+0+0+0+1], a[112:115]
/*  mfmaIndex:160  */
/* localReadsVacancy: latencyLeft 2 */
v_mfma_f32_16x16x16_bf16 a[128+0:131+0], v[vgprValuB_X0_I0+16+0+0:vgprValuB_X0_I0+16+0+0+1], v[vgprValuA_X2_I0+0+0+0:vgprValuA_X2_I0+0+0+0+1], a[128:131]
/*  mfmaIndex:161  */
/* localReadsVacancy: latencyLeft 2 */
v_mfma_f32_16x16x16_bf16 a[132+0:135+0], v[vgprValuB_X0_I0+16+0+0:vgprValuB_X0_I0+16+0+0+1], v[vgprValuA_X2_I0+2+0+0:vgprValuA_X2_I0+2+0+0+1], a[132:135]
/*  mfmaIndex:162  */
/* localReadsVacancy: latencyLeft 2 */
v_mfma_f32_16x16x16_bf16 a[136+0:139+0], v[vgprValuB_X0_I0+16+0+0:vgprValuB_X0_I0+16+0+0+1], v[vgprValuA_X2_I0+4+0+0:vgprValuA_X2_I0+4+0+0+1], a[136:139]
/*  mfmaIndex:163  */
/* localReadsVacancy: latencyLeft 2 */
v_mfma_f32_16x16x16_bf16 a[140+0:143+0], v[vgprValuB_X0_I0+16+0+0:vgprValuB_X0_I0+16+0+0+1], v[vgprValuA_X2_I0+6+0+0:vgprValuA_X2_I0+6+0+0+1], a[140:143]
/*  mfmaIndex:164  */
/* localReadsVacancy: latencyLeft 2 */
v_mfma_f32_16x16x16_bf16 a[156+0:159+0], v[vgprValuB_X0_I0+18+0+0:vgprValuB_X0_I0+18+0+0+1], v[vgprValuA_X2_I0+6+0+0:vgprValuA_X2_I0+6+0+0+1], a[156:159]
/*  mfmaIndex:165  */
/* localReadsVacancy: latencyLeft 2 */
v_mfma_f32_16x16x16_bf16 a[152+0:155+0], v[vgprValuB_X0_I0+18+0+0:vgprValuB_X0_I0+18+0+0+1], v[vgprValuA_X2_I0+4+0+0:vgprValuA_X2_I0+4+0+0+1], a[152:155]
/*  mfmaIndex:166  */
/* localReadsVacancy: latencyLeft 2 */
v_mfma_f32_16x16x16_bf16 a[148+0:151+0], v[vgprValuB_X0_I0+18+0+0:vgprValuB_X0_I0+18+0+0+1], v[vgprValuA_X2_I0+2+0+0:vgprValuA_X2_I0+2+0+0+1], a[148:151]
/*  mfmaIndex:167  */
/* localReadsVacancy: latencyLeft 2 */
v_mfma_f32_16x16x16_bf16 a[144+0:147+0], v[vgprValuB_X0_I0+18+0+0:vgprValuB_X0_I0+18+0+0+1], v[vgprValuA_X2_I0+0+0+0:vgprValuA_X2_I0+0+0+0+1], a[144:147]
/*  mfmaIndex:168  */
/* localReadsVacancy: latencyLeft 2 */
v_mfma_f32_16x16x16_bf16 a[160+0:163+0], v[vgprValuB_X0_I0+20+0+0:vgprValuB_X0_I0+20+0+0+1], v[vgprValuA_X2_I0+0+0+0:vgprValuA_X2_I0+0+0+0+1], a[160:163]
/*  mfmaIndex:169  */
/* localReadsVacancy: latencyLeft 2 */
v_mfma_f32_16x16x16_bf16 a[164+0:167+0], v[vgprValuB_X0_I0+20+0+0:vgprValuB_X0_I0+20+0+0+1], v[vgprValuA_X2_I0+2+0+0:vgprValuA_X2_I0+2+0+0+1], a[164:167]
/*  mfmaIndex:170  */
/* localReadsVacancy: latencyLeft 2 */
v_mfma_f32_16x16x16_bf16 a[168+0:171+0], v[vgprValuB_X0_I0+20+0+0:vgprValuB_X0_I0+20+0+0+1], v[vgprValuA_X2_I0+4+0+0:vgprValuA_X2_I0+4+0+0+1], a[168:171]
/*  mfmaIndex:171  */
/* localReadsVacancy: latencyLeft 2 */
v_mfma_f32_16x16x16_bf16 a[172+0:175+0], v[vgprValuB_X0_I0+20+0+0:vgprValuB_X0_I0+20+0+0+1], v[vgprValuA_X2_I0+6+0+0:vgprValuA_X2_I0+6+0+0+1], a[172:175]
/*  mfmaIndex:172  */
/* localReadsVacancy: latencyLeft 2 */
v_mfma_f32_16x16x16_bf16 a[188+0:191+0], v[vgprValuB_X0_I0+22+0+0:vgprValuB_X0_I0+22+0+0+1], v[vgprValuA_X2_I0+6+0+0:vgprValuA_X2_I0+6+0+0+1], a[188:191]
/*  mfmaIndex:173  */
/* localReadsVacancy: latencyLeft 2 */
v_mfma_f32_16x16x16_bf16 a[184+0:187+0], v[vgprValuB_X0_I0+22+0+0:vgprValuB_X0_I0+22+0+0+1], v[vgprValuA_X2_I0+4+0+0:vgprValuA_X2_I0+4+0+0+1], a[184:187]
/*  mfmaIndex:174  */
/* localReadsVacancy: latencyLeft 2 */
v_mfma_f32_16x16x16_bf16 a[180+0:183+0], v[vgprValuB_X0_I0+22+0+0:vgprValuB_X0_I0+22+0+0+1], v[vgprValuA_X2_I0+2+0+0:vgprValuA_X2_I0+2+0+0+1], a[180:183]
/*  mfmaIndex:175  */
/* localReadsVacancy: latencyLeft 2 */
v_mfma_f32_16x16x16_bf16 a[176+0:179+0], v[vgprValuB_X0_I0+22+0+0:vgprValuB_X0_I0+22+0+0+1], v[vgprValuA_X2_I0+0+0+0:vgprValuA_X2_I0+0+0+0+1], a[176:179]
/*  mfmaIndex:176  */
/* localReadsVacancy: latencyLeft 2 */
v_mfma_f32_16x16x16_bf16 a[192+0:195+0], v[vgprValuB_X0_I0+24+0+0:vgprValuB_X0_I0+24+0+0+1], v[vgprValuA_X2_I0+0+0+0:vgprValuA_X2_I0+0+0+0+1], a[192:195]
/*  mfmaIndex:177  */
/* localReadsVacancy: latencyLeft 2 */
v_mfma_f32_16x16x16_bf16 a[196+0:199+0], v[vgprValuB_X0_I0+24+0+0:vgprValuB_X0_I0+24+0+0+1], v[vgprValuA_X2_I0+2+0+0:vgprValuA_X2_I0+2+0+0+1], a[196:199]
/*  mfmaIndex:178  */
/* localReadsVacancy: latencyLeft 2 */
v_mfma_f32_16x16x16_bf16 a[200+0:203+0], v[vgprValuB_X0_I0+24+0+0:vgprValuB_X0_I0+24+0+0+1], v[vgprValuA_X2_I0+4+0+0:vgprValuA_X2_I0+4+0+0+1], a[200:203]
/*  mfmaIndex:179  */
/* localReadsVacancy: latencyLeft 2 */
v_mfma_f32_16x16x16_bf16 a[204+0:207+0], v[vgprValuB_X0_I0+24+0+0:vgprValuB_X0_I0+24+0+0+1], v[vgprValuA_X2_I0+6+0+0:vgprValuA_X2_I0+6+0+0+1], a[204:207]
/*  mfmaIndex:180  */
/* localReadsVacancy: latencyLeft 2 */
v_mfma_f32_16x16x16_bf16 a[220+0:223+0], v[vgprValuB_X0_I0+26+0+0:vgprValuB_X0_I0+26+0+0+1], v[vgprValuA_X2_I0+6+0+0:vgprValuA_X2_I0+6+0+0+1], a[220:223]
/*  mfmaIndex:181  */
/* localReadsVacancy: latencyLeft 2 */
v_mfma_f32_16x16x16_bf16 a[216+0:219+0], v[vgprValuB_X0_I0+26+0+0:vgprValuB_X0_I0+26+0+0+1], v[vgprValuA_X2_I0+4+0+0:vgprValuA_X2_I0+4+0+0+1], a[216:219]
/*  mfmaIndex:182  */
/* localReadsVacancy: latencyLeft 2 */
v_mfma_f32_16x16x16_bf16 a[212+0:215+0], v[vgprValuB_X0_I0+26+0+0:vgprValuB_X0_I0+26+0+0+1], v[vgprValuA_X2_I0+2+0+0:vgprValuA_X2_I0+2+0+0+1], a[212:215]
/*  mfmaIndex:183  */
/* localReadsVacancy: latencyLeft 2 */
v_mfma_f32_16x16x16_bf16 a[208+0:211+0], v[vgprValuB_X0_I0+26+0+0:vgprValuB_X0_I0+26+0+0+1], v[vgprValuA_X2_I0+0+0+0:vgprValuA_X2_I0+0+0+0+1], a[208:211]
/*  mfmaIndex:184  */
/* localReadsVacancy: latencyLeft 2 */
v_mfma_f32_16x16x16_bf16 a[224+0:227+0], v[vgprValuB_X0_I0+28+0+0:vgprValuB_X0_I0+28+0+0+1], v[vgprValuA_X2_I0+0+0+0:vgprValuA_X2_I0+0+0+0+1], a[224:227]
/*  mfmaIndex:185  */
/* localReadsVacancy: latencyLeft 2 */
v_mfma_f32_16x16x16_bf16 a[228+0:231+0], v[vgprValuB_X0_I0+28+0+0:vgprValuB_X0_I0+28+0+0+1], v[vgprValuA_X2_I0+2+0+0:vgprValuA_X2_I0+2+0+0+1], a[228:231]
/*  mfmaIndex:186  */
/* localReadsVacancy: latencyLeft 2 */
v_mfma_f32_16x16x16_bf16 a[232+0:235+0], v[vgprValuB_X0_I0+28+0+0:vgprValuB_X0_I0+28+0+0+1], v[vgprValuA_X2_I0+4+0+0:vgprValuA_X2_I0+4+0+0+1], a[232:235]
/*  mfmaIndex:187  */
/* localReadsVacancy: latencyLeft 2 */
v_mfma_f32_16x16x16_bf16 a[236+0:239+0], v[vgprValuB_X0_I0+28+0+0:vgprValuB_X0_I0+28+0+0+1], v[vgprValuA_X2_I0+6+0+0:vgprValuA_X2_I0+6+0+0+1], a[236:239]
/*  mfmaIndex:188  */
/* localReadsVacancy: latencyLeft 2 */
v_mfma_f32_16x16x16_bf16 a[252+0:255+0], v[vgprValuB_X0_I0+30+0+0:vgprValuB_X0_I0+30+0+0+1], v[vgprValuA_X2_I0+6+0+0:vgprValuA_X2_I0+6+0+0+1], a[252:255]
/*  mfmaIndex:189  */
/* localReadsVacancy: latencyLeft 2 */
v_mfma_f32_16x16x16_bf16 a[248+0:251+0], v[vgprValuB_X0_I0+30+0+0:vgprValuB_X0_I0+30+0+0+1], v[vgprValuA_X2_I0+4+0+0:vgprValuA_X2_I0+4+0+0+1], a[248:251]
/*  mfmaIndex:190  */
/* localReadsVacancy: latencyLeft 2 */
v_mfma_f32_16x16x16_bf16 a[244+0:247+0], v[vgprValuB_X0_I0+30+0+0:vgprValuB_X0_I0+30+0+0+1], v[vgprValuA_X2_I0+2+0+0:vgprValuA_X2_I0+2+0+0+1], a[244:247]
/*  mfmaIndex:191  */
/* localReadsVacancy: latencyLeft 2 */
v_mfma_f32_16x16x16_bf16 a[240+0:243+0], v[vgprValuB_X0_I0+30+0+0:vgprValuB_X0_I0+30+0+0+1], v[vgprValuA_X2_I0+0+0+0:vgprValuA_X2_I0+0+0+0+1], a[240:243]
/* numPrefetchIter=0 */
/* dataAtIterA=1 numReadsIterA=3 skipReadsIterA=1 readsPerIterA=1 */
/* dataAtIterB=1 numReadsIterB=3 skipReadsIterB=1 readsPerIterB=16 */


/* iter 3 (last unrolled loop) */

s_waitcnt vmcnt(0)                                 // lgkmcnt=-1 vmcnt=0global read wait for DirectToVgpr

/*  grEndMfmaIndex:0, lwStartMfmaIndex:228, lwEndMfmaIndex:228  */
/*  numMfmaForLR:21, barrierMfmaIndex:234 */
/*  mfmaIndex:192  */
s_waitcnt lgkmcnt(0)                               // lgkmcnt=0 vmcnt=-1wait for prior local read local write old=0, new=0 newLW=0 newLR=0
/* pack scheduling: packAIdx:2, packBIdx:0 */
v_perm_b32 v[vgprValuA_X3_I0+0], v[vgprValuA_X3_I0_D1+0], v[vgprValuA_X3_I0_D0+0], s[sgprPackKForV0] // select K=01 for vector=0
v_perm_b32 v[vgprValuA_X3_I0+1], v[vgprValuA_X3_I0_D3+0], v[vgprValuA_X3_I0_D2+0], s[sgprPackKForV0] // select K=23 for vector=0
v_perm_b32 v[vgprValuA_X3_I0+2], v[vgprValuA_X3_I0_D1+0], v[vgprValuA_X3_I0_D0+0], s[sgprPackKForV1] // select K=01 for vector=1
v_perm_b32 v[vgprValuA_X3_I0+3], v[vgprValuA_X3_I0_D3+0], v[vgprValuA_X3_I0_D2+0], s[sgprPackKForV1] // select K=23 for vector=1
v_mfma_f32_16x16x16_bf16 a[0+0:3+0], v[vgprValuB_X1_I0+0+0+0:vgprValuB_X1_I0+0+0+0+1], v[vgprValuA_X3_I0+0+0+0:vgprValuA_X3_I0+0+0+0+1], a[0:3]
/*  mfmaIndex:193  */
/* pack scheduling: packAIdx:4, packBIdx:0 */
v_perm_b32 v[vgprValuA_X3_I0+4], v[vgprValuA_X3_I0_D1+1], v[vgprValuA_X3_I0_D0+1], s[sgprPackKForV0] // select K=01 for vector=0
v_perm_b32 v[vgprValuA_X3_I0+5], v[vgprValuA_X3_I0_D3+1], v[vgprValuA_X3_I0_D2+1], s[sgprPackKForV0] // select K=23 for vector=0
v_mfma_f32_16x16x16_bf16 a[4+0:7+0], v[vgprValuB_X1_I0+0+0+0:vgprValuB_X1_I0+0+0+0+1], v[vgprValuA_X3_I0+2+0+0:vgprValuA_X3_I0+2+0+0+1], a[4:7]
/*  mfmaIndex:194  */
/* pack scheduling: packAIdx:6, packBIdx:0 */
v_perm_b32 v[vgprValuA_X3_I0+6], v[vgprValuA_X3_I0_D1+1], v[vgprValuA_X3_I0_D0+1], s[sgprPackKForV1] // select K=01 for vector=1
v_perm_b32 v[vgprValuA_X3_I0+7], v[vgprValuA_X3_I0_D3+1], v[vgprValuA_X3_I0_D2+1], s[sgprPackKForV1] // select K=23 for vector=1
v_mfma_f32_16x16x16_bf16 a[8+0:11+0], v[vgprValuB_X1_I0+0+0+0:vgprValuB_X1_I0+0+0+0+1], v[vgprValuA_X3_I0+4+0+0:vgprValuA_X3_I0+4+0+0+1], a[8:11]
/*  mfmaIndex:195  */
v_mfma_f32_16x16x16_bf16 a[12+0:15+0], v[vgprValuB_X1_I0+0+0+0:vgprValuB_X1_I0+0+0+0+1], v[vgprValuA_X3_I0+6+0+0:vgprValuA_X3_I0+6+0+0+1], a[12:15]
/*  mfmaIndex:196  */
	;; [unrolled: 2-line block ×33, first 2 shown]
/* 1 LDS buffer: read-sync-write */
s_waitcnt lgkmcnt(0)                               // 
s_barrier                                          // 
v_mfma_f32_16x16x16_bf16 a[140+0:143+0], v[vgprValuB_X1_I0+16+0+0:vgprValuB_X1_I0+16+0+0+1], v[vgprValuA_X3_I0+6+0+0:vgprValuA_X3_I0+6+0+0+1], a[140:143]
/*  mfmaIndex:228  */
v_mfma_f32_16x16x16_bf16 a[156+0:159+0], v[vgprValuB_X1_I0+18+0+0:vgprValuB_X1_I0+18+0+0+1], v[vgprValuA_X3_I0+6+0+0:vgprValuA_X3_I0+6+0+0+1], a[156:159]
/*  mfmaIndex:229  */
	;; [unrolled: 2-line block ×28, first 2 shown]
v_mfma_f32_16x16x16_bf16 a[240+0:243+0], v[vgprValuB_X1_I0+30+0+0:vgprValuB_X1_I0+30+0+0+1], v[vgprValuA_X3_I0+0+0+0:vgprValuA_X3_I0+0+0+0+1], a[240:243]
/* numPrefetchIter=0 */
/* dataAtIterA=2 numReadsIterA=3 skipReadsIterA=0 readsPerIterA=1 */
/* dataAtIterB=2 numReadsIterB=3 skipReadsIterB=0 readsPerIterB=16 */

s_branch label_0017                                // Skip even code
label_0016: // EvenStartNoLoadLoopOpt 


	;; [unrolled: 1-line block ×3, first 2 shown]
/* iter 0 (last unrolled loop) */

s_waitcnt vmcnt(12)                                // lgkmcnt=-1 vmcnt=12global read wait for DirectToVgpr

/*  grEndMfmaIndex:0, lwStartMfmaIndex:228, lwEndMfmaIndex:228  */
/*  numMfmaForLR:21, barrierMfmaIndex:234 */
/*  mfmaIndex:0  */
s_waitcnt lgkmcnt(0)                               // lgkmcnt=0 vmcnt=-1wait for prior local read local write old=0, new=0 newLW=0 newLR=0
/* pack scheduling: packAIdx:2, packBIdx:0 */
v_perm_b32 v[vgprValuA_X4_I0+0], v[vgprValuA_X4_I0_D1+0], v[vgprValuA_X4_I0_D0+0], s[sgprPackKForV0] // select K=01 for vector=0
v_perm_b32 v[vgprValuA_X4_I0+1], v[vgprValuA_X4_I0_D3+0], v[vgprValuA_X4_I0_D2+0], s[sgprPackKForV0] // select K=23 for vector=0
v_perm_b32 v[vgprValuA_X4_I0+2], v[vgprValuA_X4_I0_D1+0], v[vgprValuA_X4_I0_D0+0], s[sgprPackKForV1] // select K=01 for vector=1
v_perm_b32 v[vgprValuA_X4_I0+3], v[vgprValuA_X4_I0_D3+0], v[vgprValuA_X4_I0_D2+0], s[sgprPackKForV1] // select K=23 for vector=1
v_mfma_f32_16x16x16_bf16 a[0+0:3+0], v[vgprValuB_X0_I0+0+0+0:vgprValuB_X0_I0+0+0+0+1], v[vgprValuA_X4_I0+0+0+0:vgprValuA_X4_I0+0+0+0+1], a[0:3]
/*  mfmaIndex:1  */
_ds_load_b64 v[vgprValuB_X1_I0+0:vgprValuB_X1_I0+0+1], v[vgprLocalReadAddrB] offset:32 // L -> Reg lro=16 swapByteOffset=0 ti=32 vIdx=0 rIdx=0 oIdx=0 buffer=1 iui=0
s_setprio 3                                        // store optimization
/* pack scheduling: packAIdx:4, packBIdx:0 */
v_perm_b32 v[vgprValuA_X4_I0+4], v[vgprValuA_X4_I0_D1+1], v[vgprValuA_X4_I0_D0+1], s[sgprPackKForV0] // select K=01 for vector=0
v_perm_b32 v[vgprValuA_X4_I0+5], v[vgprValuA_X4_I0_D3+1], v[vgprValuA_X4_I0_D2+1], s[sgprPackKForV0] // select K=23 for vector=0
v_mfma_f32_16x16x16_bf16 a[4+0:7+0], v[vgprValuB_X0_I0+0+0+0:vgprValuB_X0_I0+0+0+0+1], v[vgprValuA_X4_I0+2+0+0:vgprValuA_X4_I0+2+0+0+1], a[4:7]
/*  mfmaIndex:2  */
_ds_load_b64 v[vgprValuB_X1_I0+2:vgprValuB_X1_I0+2+1], v[vgprLocalReadAddrB] offset:160 // L -> Reg lro=16 swapByteOffset=0 ti=32 vIdx=0 rIdx=0 oIdx=0 buffer=1 iui=0
/* pack scheduling: packAIdx:6, packBIdx:0 */
v_perm_b32 v[vgprValuA_X4_I0+6], v[vgprValuA_X4_I0_D1+1], v[vgprValuA_X4_I0_D0+1], s[sgprPackKForV1] // select K=01 for vector=1
v_perm_b32 v[vgprValuA_X4_I0+7], v[vgprValuA_X4_I0_D3+1], v[vgprValuA_X4_I0_D2+1], s[sgprPackKForV1] // select K=23 for vector=1
v_mfma_f32_16x16x16_bf16 a[8+0:11+0], v[vgprValuB_X0_I0+0+0+0:vgprValuB_X0_I0+0+0+0+1], v[vgprValuA_X4_I0+4+0+0:vgprValuA_X4_I0+4+0+0+1], a[8:11]
/*  mfmaIndex:3  */
_ds_load_b64 v[vgprValuB_X1_I0+4:vgprValuB_X1_I0+4+1], v[vgprLocalReadAddrB] offset:4256 // L -> Reg lro=16 swapByteOffset=0 ti=32 vIdx=1 rIdx=0 oIdx=0 buffer=1 iui=0
v_mfma_f32_16x16x16_bf16 a[12+0:15+0], v[vgprValuB_X0_I0+0+0+0:vgprValuB_X0_I0+0+0+0+1], v[vgprValuA_X4_I0+6+0+0:vgprValuA_X4_I0+6+0+0+1], a[12:15]
/*  mfmaIndex:4  */
_ds_load_b64 v[vgprValuB_X1_I0+6:vgprValuB_X1_I0+6+1], v[vgprLocalReadAddrB] offset:4384 // L -> Reg lro=16 swapByteOffset=0 ti=32 vIdx=1 rIdx=0 oIdx=0 buffer=1 iui=0
	;; [unrolled: 3-line block ×14, first 2 shown]
v_mfma_f32_16x16x16_bf16 a[64+0:67+0], v[vgprValuB_X0_I0+8+0+0:vgprValuB_X0_I0+8+0+0+1], v[vgprValuA_X4_I0+0+0+0:vgprValuA_X4_I0+0+0+0+1], a[64:67]
/*  mfmaIndex:17  */
/* localReadsVacancy: latencyLeft 2 */
v_mfma_f32_16x16x16_bf16 a[68+0:71+0], v[vgprValuB_X0_I0+8+0+0:vgprValuB_X0_I0+8+0+0+1], v[vgprValuA_X4_I0+2+0+0:vgprValuA_X4_I0+2+0+0+1], a[68:71]
/*  mfmaIndex:18  */
/* localReadsVacancy: latencyLeft 2 */
	;; [unrolled: 3-line block ×47, first 2 shown]
v_mfma_f32_16x16x16_bf16 a[240+0:243+0], v[vgprValuB_X0_I0+30+0+0:vgprValuB_X0_I0+30+0+0+1], v[vgprValuA_X4_I0+0+0+0:vgprValuA_X4_I0+0+0+0+1], a[240:243]
/* numPrefetchIter=0 */
/* dataAtIterA=-1 numReadsIterA=1 skipReadsIterA=1 readsPerIterA=1 */
/* dataAtIterB=-1 numReadsIterB=1 skipReadsIterB=1 readsPerIterB=16 */


/* iter 1 (last unrolled loop) */

s_waitcnt vmcnt(8)                                 // lgkmcnt=-1 vmcnt=8global read wait for DirectToVgpr

/*  grEndMfmaIndex:0, lwStartMfmaIndex:228, lwEndMfmaIndex:228  */
/*  numMfmaForLR:21, barrierMfmaIndex:234 */
/*  mfmaIndex:64  */
_ds_load_b64 v[vgprValuB_X0_I0+0:vgprValuB_X0_I0+0+1], v[vgprLocalReadAddrB] offset:64 // L -> Reg lro=32 swapByteOffset=0 ti=32 vIdx=0 rIdx=0 oIdx=0 buffer=0 iui=0
s_waitcnt lgkmcnt(1)                               // lgkmcnt=0 vmcnt=-1wait for prior local read local write old=0, new=1 newLW=0 newLR=1
/* pack scheduling: packAIdx:2, packBIdx:0 */
v_perm_b32 v[vgprValuA_X5_I0+0], v[vgprValuA_X5_I0_D1+0], v[vgprValuA_X5_I0_D0+0], s[sgprPackKForV0] // select K=01 for vector=0
v_perm_b32 v[vgprValuA_X5_I0+1], v[vgprValuA_X5_I0_D3+0], v[vgprValuA_X5_I0_D2+0], s[sgprPackKForV0] // select K=23 for vector=0
v_perm_b32 v[vgprValuA_X5_I0+2], v[vgprValuA_X5_I0_D1+0], v[vgprValuA_X5_I0_D0+0], s[sgprPackKForV1] // select K=01 for vector=1
v_perm_b32 v[vgprValuA_X5_I0+3], v[vgprValuA_X5_I0_D3+0], v[vgprValuA_X5_I0_D2+0], s[sgprPackKForV1] // select K=23 for vector=1
v_mfma_f32_16x16x16_bf16 a[0+0:3+0], v[vgprValuB_X1_I0+0+0+0:vgprValuB_X1_I0+0+0+0+1], v[vgprValuA_X5_I0+0+0+0:vgprValuA_X5_I0+0+0+0+1], a[0:3]
/*  mfmaIndex:65  */
_ds_load_b64 v[vgprValuB_X0_I0+2:vgprValuB_X0_I0+2+1], v[vgprLocalReadAddrB] offset:192 // L -> Reg lro=32 swapByteOffset=0 ti=32 vIdx=0 rIdx=0 oIdx=0 buffer=0 iui=0
/* pack scheduling: packAIdx:4, packBIdx:0 */
v_perm_b32 v[vgprValuA_X5_I0+4], v[vgprValuA_X5_I0_D1+1], v[vgprValuA_X5_I0_D0+1], s[sgprPackKForV0] // select K=01 for vector=0
v_perm_b32 v[vgprValuA_X5_I0+5], v[vgprValuA_X5_I0_D3+1], v[vgprValuA_X5_I0_D2+1], s[sgprPackKForV0] // select K=23 for vector=0
v_mfma_f32_16x16x16_bf16 a[4+0:7+0], v[vgprValuB_X1_I0+0+0+0:vgprValuB_X1_I0+0+0+0+1], v[vgprValuA_X5_I0+2+0+0:vgprValuA_X5_I0+2+0+0+1], a[4:7]
/*  mfmaIndex:66  */
_ds_load_b64 v[vgprValuB_X0_I0+4:vgprValuB_X0_I0+4+1], v[vgprLocalReadAddrB] offset:4288 // L -> Reg lro=32 swapByteOffset=0 ti=32 vIdx=1 rIdx=0 oIdx=0 buffer=0 iui=0
/* pack scheduling: packAIdx:6, packBIdx:0 */
v_perm_b32 v[vgprValuA_X5_I0+6], v[vgprValuA_X5_I0_D1+1], v[vgprValuA_X5_I0_D0+1], s[sgprPackKForV1] // select K=01 for vector=1
v_perm_b32 v[vgprValuA_X5_I0+7], v[vgprValuA_X5_I0_D3+1], v[vgprValuA_X5_I0_D2+1], s[sgprPackKForV1] // select K=23 for vector=1
v_mfma_f32_16x16x16_bf16 a[8+0:11+0], v[vgprValuB_X1_I0+0+0+0:vgprValuB_X1_I0+0+0+0+1], v[vgprValuA_X5_I0+4+0+0:vgprValuA_X5_I0+4+0+0+1], a[8:11]
/*  mfmaIndex:67  */
_ds_load_b64 v[vgprValuB_X0_I0+6:vgprValuB_X0_I0+6+1], v[vgprLocalReadAddrB] offset:4416 // L -> Reg lro=32 swapByteOffset=0 ti=32 vIdx=1 rIdx=0 oIdx=0 buffer=0 iui=0
v_mfma_f32_16x16x16_bf16 a[12+0:15+0], v[vgprValuB_X1_I0+0+0+0:vgprValuB_X1_I0+0+0+0+1], v[vgprValuA_X5_I0+6+0+0:vgprValuA_X5_I0+6+0+0+1], a[12:15]
/*  mfmaIndex:68  */
_ds_load_b64 v[vgprValuB_X0_I0+8:vgprValuB_X0_I0+8+1], v[vgprLocalReadAddrB] offset:8512 // L -> Reg lro=32 swapByteOffset=0 ti=32 vIdx=2 rIdx=0 oIdx=0 buffer=0 iui=0
	;; [unrolled: 3-line block ×13, first 2 shown]
v_mfma_f32_16x16x16_bf16 a[48+0:51+0], v[vgprValuB_X1_I0+6+0+0:vgprValuB_X1_I0+6+0+0+1], v[vgprValuA_X5_I0+0+0+0:vgprValuA_X5_I0+0+0+0+1], a[48:51]
/*  mfmaIndex:80  */
/* localReadsVacancy: latencyLeft 2 */
v_mfma_f32_16x16x16_bf16 a[64+0:67+0], v[vgprValuB_X1_I0+8+0+0:vgprValuB_X1_I0+8+0+0+1], v[vgprValuA_X5_I0+0+0+0:vgprValuA_X5_I0+0+0+0+1], a[64:67]
/*  mfmaIndex:81  */
/* localReadsVacancy: latencyLeft 2 */
	;; [unrolled: 3-line block ×48, first 2 shown]
v_mfma_f32_16x16x16_bf16 a[240+0:243+0], v[vgprValuB_X1_I0+30+0+0:vgprValuB_X1_I0+30+0+0+1], v[vgprValuA_X5_I0+0+0+0:vgprValuA_X5_I0+0+0+0+1], a[240:243]
s_setprio 0                                        // store optimization
/* numPrefetchIter=0 */
/* dataAtIterA=0 numReadsIterA=2 skipReadsIterA=1 readsPerIterA=1 */
/* dataAtIterB=0 numReadsIterB=2 skipReadsIterB=1 readsPerIterB=16 */


/* iter 2 (last unrolled loop) */

s_waitcnt vmcnt(4)                                 // lgkmcnt=-1 vmcnt=4global read wait for DirectToVgpr

/*  grEndMfmaIndex:0, lwStartMfmaIndex:228, lwEndMfmaIndex:228  */
/*  numMfmaForLR:21, barrierMfmaIndex:234 */
/*  mfmaIndex:128  */
_ds_load_b64 v[vgprValuB_X1_I0+0:vgprValuB_X1_I0+0+1], v[vgprLocalReadAddrB] offset:96 // L -> Reg lro=48 swapByteOffset=0 ti=32 vIdx=0 rIdx=0 oIdx=0 buffer=1 iui=0
s_waitcnt lgkmcnt(1)                               // lgkmcnt=0 vmcnt=-1wait for prior local read local write old=0, new=1 newLW=0 newLR=1
/* pack scheduling: packAIdx:2, packBIdx:0 */
v_perm_b32 v[vgprValuA_X6_I0+0], v[vgprValuA_X6_I0_D1+0], v[vgprValuA_X6_I0_D0+0], s[sgprPackKForV0] // select K=01 for vector=0
v_perm_b32 v[vgprValuA_X6_I0+1], v[vgprValuA_X6_I0_D3+0], v[vgprValuA_X6_I0_D2+0], s[sgprPackKForV0] // select K=23 for vector=0
v_perm_b32 v[vgprValuA_X6_I0+2], v[vgprValuA_X6_I0_D1+0], v[vgprValuA_X6_I0_D0+0], s[sgprPackKForV1] // select K=01 for vector=1
v_perm_b32 v[vgprValuA_X6_I0+3], v[vgprValuA_X6_I0_D3+0], v[vgprValuA_X6_I0_D2+0], s[sgprPackKForV1] // select K=23 for vector=1
v_mfma_f32_16x16x16_bf16 a[0+0:3+0], v[vgprValuB_X0_I0+0+0+0:vgprValuB_X0_I0+0+0+0+1], v[vgprValuA_X6_I0+0+0+0:vgprValuA_X6_I0+0+0+0+1], a[0:3]
/*  mfmaIndex:129  */
_ds_load_b64 v[vgprValuB_X1_I0+2:vgprValuB_X1_I0+2+1], v[vgprLocalReadAddrB] offset:224 // L -> Reg lro=48 swapByteOffset=0 ti=32 vIdx=0 rIdx=0 oIdx=0 buffer=1 iui=0
/* pack scheduling: packAIdx:4, packBIdx:0 */
v_perm_b32 v[vgprValuA_X6_I0+4], v[vgprValuA_X6_I0_D1+1], v[vgprValuA_X6_I0_D0+1], s[sgprPackKForV0] // select K=01 for vector=0
v_perm_b32 v[vgprValuA_X6_I0+5], v[vgprValuA_X6_I0_D3+1], v[vgprValuA_X6_I0_D2+1], s[sgprPackKForV0] // select K=23 for vector=0
v_mfma_f32_16x16x16_bf16 a[4+0:7+0], v[vgprValuB_X0_I0+0+0+0:vgprValuB_X0_I0+0+0+0+1], v[vgprValuA_X6_I0+2+0+0:vgprValuA_X6_I0+2+0+0+1], a[4:7]
/*  mfmaIndex:130  */
_ds_load_b64 v[vgprValuB_X1_I0+4:vgprValuB_X1_I0+4+1], v[vgprLocalReadAddrB] offset:4320 // L -> Reg lro=48 swapByteOffset=0 ti=32 vIdx=1 rIdx=0 oIdx=0 buffer=1 iui=0
/* pack scheduling: packAIdx:6, packBIdx:0 */
v_perm_b32 v[vgprValuA_X6_I0+6], v[vgprValuA_X6_I0_D1+1], v[vgprValuA_X6_I0_D0+1], s[sgprPackKForV1] // select K=01 for vector=1
v_perm_b32 v[vgprValuA_X6_I0+7], v[vgprValuA_X6_I0_D3+1], v[vgprValuA_X6_I0_D2+1], s[sgprPackKForV1] // select K=23 for vector=1
v_mfma_f32_16x16x16_bf16 a[8+0:11+0], v[vgprValuB_X0_I0+0+0+0:vgprValuB_X0_I0+0+0+0+1], v[vgprValuA_X6_I0+4+0+0:vgprValuA_X6_I0+4+0+0+1], a[8:11]
/*  mfmaIndex:131  */
_ds_load_b64 v[vgprValuB_X1_I0+6:vgprValuB_X1_I0+6+1], v[vgprLocalReadAddrB] offset:4448 // L -> Reg lro=48 swapByteOffset=0 ti=32 vIdx=1 rIdx=0 oIdx=0 buffer=1 iui=0
v_mfma_f32_16x16x16_bf16 a[12+0:15+0], v[vgprValuB_X0_I0+0+0+0:vgprValuB_X0_I0+0+0+0+1], v[vgprValuA_X6_I0+6+0+0:vgprValuA_X6_I0+6+0+0+1], a[12:15]
/*  mfmaIndex:132  */
_ds_load_b64 v[vgprValuB_X1_I0+8:vgprValuB_X1_I0+8+1], v[vgprLocalReadAddrB] offset:8544 // L -> Reg lro=48 swapByteOffset=0 ti=32 vIdx=2 rIdx=0 oIdx=0 buffer=1 iui=0
	;; [unrolled: 3-line block ×13, first 2 shown]
v_mfma_f32_16x16x16_bf16 a[48+0:51+0], v[vgprValuB_X0_I0+6+0+0:vgprValuB_X0_I0+6+0+0+1], v[vgprValuA_X6_I0+0+0+0:vgprValuA_X6_I0+0+0+0+1], a[48:51]
/*  mfmaIndex:144  */
/* localReadsVacancy: latencyLeft 2 */
v_mfma_f32_16x16x16_bf16 a[64+0:67+0], v[vgprValuB_X0_I0+8+0+0:vgprValuB_X0_I0+8+0+0+1], v[vgprValuA_X6_I0+0+0+0:vgprValuA_X6_I0+0+0+0+1], a[64:67]
/*  mfmaIndex:145  */
/* localReadsVacancy: latencyLeft 2 */
	;; [unrolled: 3-line block ×48, first 2 shown]
v_mfma_f32_16x16x16_bf16 a[240+0:243+0], v[vgprValuB_X0_I0+30+0+0:vgprValuB_X0_I0+30+0+0+1], v[vgprValuA_X6_I0+0+0+0:vgprValuA_X6_I0+0+0+0+1], a[240:243]
/* numPrefetchIter=0 */
/* dataAtIterA=1 numReadsIterA=3 skipReadsIterA=1 readsPerIterA=1 */
/* dataAtIterB=1 numReadsIterB=3 skipReadsIterB=1 readsPerIterB=16 */


/* iter 3 (last unrolled loop) */

s_waitcnt vmcnt(0)                                 // lgkmcnt=-1 vmcnt=0global read wait for DirectToVgpr

/*  grEndMfmaIndex:0, lwStartMfmaIndex:228, lwEndMfmaIndex:228  */
/*  numMfmaForLR:21, barrierMfmaIndex:234 */
/*  mfmaIndex:192  */
s_waitcnt lgkmcnt(0)                               // lgkmcnt=0 vmcnt=-1wait for prior local read local write old=0, new=0 newLW=0 newLR=0
/* pack scheduling: packAIdx:2, packBIdx:0 */
v_perm_b32 v[vgprValuA_X7_I0+0], v[vgprValuA_X7_I0_D1+0], v[vgprValuA_X7_I0_D0+0], s[sgprPackKForV0] // select K=01 for vector=0
v_perm_b32 v[vgprValuA_X7_I0+1], v[vgprValuA_X7_I0_D3+0], v[vgprValuA_X7_I0_D2+0], s[sgprPackKForV0] // select K=23 for vector=0
v_perm_b32 v[vgprValuA_X7_I0+2], v[vgprValuA_X7_I0_D1+0], v[vgprValuA_X7_I0_D0+0], s[sgprPackKForV1] // select K=01 for vector=1
v_perm_b32 v[vgprValuA_X7_I0+3], v[vgprValuA_X7_I0_D3+0], v[vgprValuA_X7_I0_D2+0], s[sgprPackKForV1] // select K=23 for vector=1
v_mfma_f32_16x16x16_bf16 a[0+0:3+0], v[vgprValuB_X1_I0+0+0+0:vgprValuB_X1_I0+0+0+0+1], v[vgprValuA_X7_I0+0+0+0:vgprValuA_X7_I0+0+0+0+1], a[0:3]
/*  mfmaIndex:193  */
/* pack scheduling: packAIdx:4, packBIdx:0 */
v_perm_b32 v[vgprValuA_X7_I0+4], v[vgprValuA_X7_I0_D1+1], v[vgprValuA_X7_I0_D0+1], s[sgprPackKForV0] // select K=01 for vector=0
v_perm_b32 v[vgprValuA_X7_I0+5], v[vgprValuA_X7_I0_D3+1], v[vgprValuA_X7_I0_D2+1], s[sgprPackKForV0] // select K=23 for vector=0
v_mfma_f32_16x16x16_bf16 a[4+0:7+0], v[vgprValuB_X1_I0+0+0+0:vgprValuB_X1_I0+0+0+0+1], v[vgprValuA_X7_I0+2+0+0:vgprValuA_X7_I0+2+0+0+1], a[4:7]
/*  mfmaIndex:194  */
/* pack scheduling: packAIdx:6, packBIdx:0 */
v_perm_b32 v[vgprValuA_X7_I0+6], v[vgprValuA_X7_I0_D1+1], v[vgprValuA_X7_I0_D0+1], s[sgprPackKForV1] // select K=01 for vector=1
v_perm_b32 v[vgprValuA_X7_I0+7], v[vgprValuA_X7_I0_D3+1], v[vgprValuA_X7_I0_D2+1], s[sgprPackKForV1] // select K=23 for vector=1
v_mfma_f32_16x16x16_bf16 a[8+0:11+0], v[vgprValuB_X1_I0+0+0+0:vgprValuB_X1_I0+0+0+0+1], v[vgprValuA_X7_I0+4+0+0:vgprValuA_X7_I0+4+0+0+1], a[8:11]
/*  mfmaIndex:195  */
v_mfma_f32_16x16x16_bf16 a[12+0:15+0], v[vgprValuB_X1_I0+0+0+0:vgprValuB_X1_I0+0+0+0+1], v[vgprValuA_X7_I0+6+0+0:vgprValuA_X7_I0+6+0+0+1], a[12:15]
/*  mfmaIndex:196  */
v_mfma_f32_16x16x16_bf16 a[28+0:31+0], v[vgprValuB_X1_I0+2+0+0:vgprValuB_X1_I0+2+0+0+1], v[vgprValuA_X7_I0+6+0+0:vgprValuA_X7_I0+6+0+0+1], a[28:31]
/*  mfmaIndex:197  */
v_mfma_f32_16x16x16_bf16 a[24+0:27+0], v[vgprValuB_X1_I0+2+0+0:vgprValuB_X1_I0+2+0+0+1], v[vgprValuA_X7_I0+4+0+0:vgprValuA_X7_I0+4+0+0+1], a[24:27]
/*  mfmaIndex:198  */
v_mfma_f32_16x16x16_bf16 a[20+0:23+0], v[vgprValuB_X1_I0+2+0+0:vgprValuB_X1_I0+2+0+0+1], v[vgprValuA_X7_I0+2+0+0:vgprValuA_X7_I0+2+0+0+1], a[20:23]
/*  mfmaIndex:199  */
v_mfma_f32_16x16x16_bf16 a[16+0:19+0], v[vgprValuB_X1_I0+2+0+0:vgprValuB_X1_I0+2+0+0+1], v[vgprValuA_X7_I0+0+0+0:vgprValuA_X7_I0+0+0+0+1], a[16:19]
/*  mfmaIndex:200  */
v_mfma_f32_16x16x16_bf16 a[32+0:35+0], v[vgprValuB_X1_I0+4+0+0:vgprValuB_X1_I0+4+0+0+1], v[vgprValuA_X7_I0+0+0+0:vgprValuA_X7_I0+0+0+0+1], a[32:35]
/*  mfmaIndex:201  */
v_mfma_f32_16x16x16_bf16 a[36+0:39+0], v[vgprValuB_X1_I0+4+0+0:vgprValuB_X1_I0+4+0+0+1], v[vgprValuA_X7_I0+2+0+0:vgprValuA_X7_I0+2+0+0+1], a[36:39]
/*  mfmaIndex:202  */
v_mfma_f32_16x16x16_bf16 a[40+0:43+0], v[vgprValuB_X1_I0+4+0+0:vgprValuB_X1_I0+4+0+0+1], v[vgprValuA_X7_I0+4+0+0:vgprValuA_X7_I0+4+0+0+1], a[40:43]
/*  mfmaIndex:203  */
v_mfma_f32_16x16x16_bf16 a[44+0:47+0], v[vgprValuB_X1_I0+4+0+0:vgprValuB_X1_I0+4+0+0+1], v[vgprValuA_X7_I0+6+0+0:vgprValuA_X7_I0+6+0+0+1], a[44:47]
/*  mfmaIndex:204  */
v_mfma_f32_16x16x16_bf16 a[60+0:63+0], v[vgprValuB_X1_I0+6+0+0:vgprValuB_X1_I0+6+0+0+1], v[vgprValuA_X7_I0+6+0+0:vgprValuA_X7_I0+6+0+0+1], a[60:63]
/*  mfmaIndex:205  */
v_mfma_f32_16x16x16_bf16 a[56+0:59+0], v[vgprValuB_X1_I0+6+0+0:vgprValuB_X1_I0+6+0+0+1], v[vgprValuA_X7_I0+4+0+0:vgprValuA_X7_I0+4+0+0+1], a[56:59]
/*  mfmaIndex:206  */
v_mfma_f32_16x16x16_bf16 a[52+0:55+0], v[vgprValuB_X1_I0+6+0+0:vgprValuB_X1_I0+6+0+0+1], v[vgprValuA_X7_I0+2+0+0:vgprValuA_X7_I0+2+0+0+1], a[52:55]
/*  mfmaIndex:207  */
v_mfma_f32_16x16x16_bf16 a[48+0:51+0], v[vgprValuB_X1_I0+6+0+0:vgprValuB_X1_I0+6+0+0+1], v[vgprValuA_X7_I0+0+0+0:vgprValuA_X7_I0+0+0+0+1], a[48:51]
/*  mfmaIndex:208  */
v_mfma_f32_16x16x16_bf16 a[64+0:67+0], v[vgprValuB_X1_I0+8+0+0:vgprValuB_X1_I0+8+0+0+1], v[vgprValuA_X7_I0+0+0+0:vgprValuA_X7_I0+0+0+0+1], a[64:67]
/*  mfmaIndex:209  */
v_mfma_f32_16x16x16_bf16 a[68+0:71+0], v[vgprValuB_X1_I0+8+0+0:vgprValuB_X1_I0+8+0+0+1], v[vgprValuA_X7_I0+2+0+0:vgprValuA_X7_I0+2+0+0+1], a[68:71]
/*  mfmaIndex:210  */
v_mfma_f32_16x16x16_bf16 a[72+0:75+0], v[vgprValuB_X1_I0+8+0+0:vgprValuB_X1_I0+8+0+0+1], v[vgprValuA_X7_I0+4+0+0:vgprValuA_X7_I0+4+0+0+1], a[72:75]
/*  mfmaIndex:211  */
v_mfma_f32_16x16x16_bf16 a[76+0:79+0], v[vgprValuB_X1_I0+8+0+0:vgprValuB_X1_I0+8+0+0+1], v[vgprValuA_X7_I0+6+0+0:vgprValuA_X7_I0+6+0+0+1], a[76:79]
/*  mfmaIndex:212  */
v_mfma_f32_16x16x16_bf16 a[92+0:95+0], v[vgprValuB_X1_I0+10+0+0:vgprValuB_X1_I0+10+0+0+1], v[vgprValuA_X7_I0+6+0+0:vgprValuA_X7_I0+6+0+0+1], a[92:95]
/*  mfmaIndex:213  */
v_mfma_f32_16x16x16_bf16 a[88+0:91+0], v[vgprValuB_X1_I0+10+0+0:vgprValuB_X1_I0+10+0+0+1], v[vgprValuA_X7_I0+4+0+0:vgprValuA_X7_I0+4+0+0+1], a[88:91]
/*  mfmaIndex:214  */
v_mfma_f32_16x16x16_bf16 a[84+0:87+0], v[vgprValuB_X1_I0+10+0+0:vgprValuB_X1_I0+10+0+0+1], v[vgprValuA_X7_I0+2+0+0:vgprValuA_X7_I0+2+0+0+1], a[84:87]
/*  mfmaIndex:215  */
v_mfma_f32_16x16x16_bf16 a[80+0:83+0], v[vgprValuB_X1_I0+10+0+0:vgprValuB_X1_I0+10+0+0+1], v[vgprValuA_X7_I0+0+0+0:vgprValuA_X7_I0+0+0+0+1], a[80:83]
/*  mfmaIndex:216  */
v_mfma_f32_16x16x16_bf16 a[96+0:99+0], v[vgprValuB_X1_I0+12+0+0:vgprValuB_X1_I0+12+0+0+1], v[vgprValuA_X7_I0+0+0+0:vgprValuA_X7_I0+0+0+0+1], a[96:99]
/*  mfmaIndex:217  */
v_mfma_f32_16x16x16_bf16 a[100+0:103+0], v[vgprValuB_X1_I0+12+0+0:vgprValuB_X1_I0+12+0+0+1], v[vgprValuA_X7_I0+2+0+0:vgprValuA_X7_I0+2+0+0+1], a[100:103]
/*  mfmaIndex:218  */
v_mfma_f32_16x16x16_bf16 a[104+0:107+0], v[vgprValuB_X1_I0+12+0+0:vgprValuB_X1_I0+12+0+0+1], v[vgprValuA_X7_I0+4+0+0:vgprValuA_X7_I0+4+0+0+1], a[104:107]
/*  mfmaIndex:219  */
v_mfma_f32_16x16x16_bf16 a[108+0:111+0], v[vgprValuB_X1_I0+12+0+0:vgprValuB_X1_I0+12+0+0+1], v[vgprValuA_X7_I0+6+0+0:vgprValuA_X7_I0+6+0+0+1], a[108:111]
/*  mfmaIndex:220  */
v_mfma_f32_16x16x16_bf16 a[124+0:127+0], v[vgprValuB_X1_I0+14+0+0:vgprValuB_X1_I0+14+0+0+1], v[vgprValuA_X7_I0+6+0+0:vgprValuA_X7_I0+6+0+0+1], a[124:127]
/*  mfmaIndex:221  */
v_mfma_f32_16x16x16_bf16 a[120+0:123+0], v[vgprValuB_X1_I0+14+0+0:vgprValuB_X1_I0+14+0+0+1], v[vgprValuA_X7_I0+4+0+0:vgprValuA_X7_I0+4+0+0+1], a[120:123]
/*  mfmaIndex:222  */
v_mfma_f32_16x16x16_bf16 a[116+0:119+0], v[vgprValuB_X1_I0+14+0+0:vgprValuB_X1_I0+14+0+0+1], v[vgprValuA_X7_I0+2+0+0:vgprValuA_X7_I0+2+0+0+1], a[116:119]
/*  mfmaIndex:223  */
v_mfma_f32_16x16x16_bf16 a[112+0:115+0], v[vgprValuB_X1_I0+14+0+0:vgprValuB_X1_I0+14+0+0+1], v[vgprValuA_X7_I0+0+0+0:vgprValuA_X7_I0+0+0+0+1], a[112:115]
/*  mfmaIndex:224  */
v_mfma_f32_16x16x16_bf16 a[128+0:131+0], v[vgprValuB_X1_I0+16+0+0:vgprValuB_X1_I0+16+0+0+1], v[vgprValuA_X7_I0+0+0+0:vgprValuA_X7_I0+0+0+0+1], a[128:131]
/*  mfmaIndex:225  */
v_mfma_f32_16x16x16_bf16 a[132+0:135+0], v[vgprValuB_X1_I0+16+0+0:vgprValuB_X1_I0+16+0+0+1], v[vgprValuA_X7_I0+2+0+0:vgprValuA_X7_I0+2+0+0+1], a[132:135]
/*  mfmaIndex:226  */
v_mfma_f32_16x16x16_bf16 a[136+0:139+0], v[vgprValuB_X1_I0+16+0+0:vgprValuB_X1_I0+16+0+0+1], v[vgprValuA_X7_I0+4+0+0:vgprValuA_X7_I0+4+0+0+1], a[136:139]
/*  mfmaIndex:227  */
/* 1 LDS buffer: read-sync-write */
s_waitcnt lgkmcnt(0)                               // 
s_barrier                                          // 
v_mfma_f32_16x16x16_bf16 a[140+0:143+0], v[vgprValuB_X1_I0+16+0+0:vgprValuB_X1_I0+16+0+0+1], v[vgprValuA_X7_I0+6+0+0:vgprValuA_X7_I0+6+0+0+1], a[140:143]
/*  mfmaIndex:228  */
v_mfma_f32_16x16x16_bf16 a[156+0:159+0], v[vgprValuB_X1_I0+18+0+0:vgprValuB_X1_I0+18+0+0+1], v[vgprValuA_X7_I0+6+0+0:vgprValuA_X7_I0+6+0+0+1], a[156:159]
/*  mfmaIndex:229  */
	;; [unrolled: 2-line block ×28, first 2 shown]
v_mfma_f32_16x16x16_bf16 a[240+0:243+0], v[vgprValuB_X1_I0+30+0+0:vgprValuB_X1_I0+30+0+0+1], v[vgprValuA_X7_I0+0+0+0:vgprValuA_X7_I0+0+0+0+1], a[240:243]
/* numPrefetchIter=0 */
/* dataAtIterA=2 numReadsIterA=3 skipReadsIterA=0 readsPerIterA=1 */
/* dataAtIterB=2 numReadsIterB=3 skipReadsIterB=0 readsPerIterB=16 */

label_0017: // EvenEndNoLoadLoopOpt 

/* Stores for OptNLL */
Summation_End_OptNLL_18:
s_setprio 0                                        // optimization store
/* endSummation: add vgpr [0...218) to pool */
.set NumFullBlocks, UNDEF
.set WgmRemainder1, UNDEF
.set MagicNumberWgmRemainder1, UNDEF

/* Mapping of Acc register -> C Vgpr register */
/* computeStoreVgprs */
v_lshrrev_b32 v4, 6, v[vgprSerial]                 // v4 = v[vgprSerial] / 64
v_and_b32 v1, 63, v[vgprSerial]                    // v1 = v[vgprSerial] % 64
v_lshrrev_b32 v1, 4, v1                            // v1 = v1 / 16
v_lshlrev_b32 v1, 0x2, v1                          // thread0 * continuous_output
v_lshrrev_b32 v5, 2, v4                            // v5 = v4 / 4
v_mul_lo_u32 v5, 0x10, v5                          // wave coordination offset 1
_v_add_lshl_u32 v1, v5, v1, 1                      // coordination 1 = vwb *(wave_id1 + tid1)
v_mul_lo_u32 v2, v1, s[sgprStrideC1J]              //  offset 1
v_mul_lo_u32 v3, v1, s[sgprStrideD1J]              //  offset 1
v_and_b32 v5, 3, v4                                // v5 = v4 % 4
v_mul_lo_u32 v5, 0x10, v5                          // wave coordination offset 0
v_and_b32 v0, 15, v[vgprSerial]                    // v0 = v[vgprSerial] % 16
_v_add_lshl_u32 v0, v5, v0, 2                      // coordination 0 = vwa *(wave_id0 + tid0)
s_mul_i32 s33, 256, s[sgprWorkGroup0]              // wgp0 * MT0
_v_add_u32 v0, s33, v0                             // coord 0 = (tid0/MI_m)*4 + waveG0*MIB_m + MT0*SG0
s_mul_i32 s33, 256, s[sgprWorkGroup1]              // wgp1 * MT1
_v_add_u32 v1, s33, v1                             // coord 1 = (tid0%MI_m) + waveG1*MIB_n + MT1*SG1
GW_B0_E0_21:

/* edge=0, allocate 2 sgpr. perBatchTmpS=2 perBatchMaskS=0 perElementMaskS=0 elementsPerBatch=60 */
/* optSingleColVgpr=1 optSharedColVgpr=0 optSGPRUsage=BufferLoad_Mask optSrdIncForRow=1 */

/******************************************/
/* Global Write Batch #0 (d1,d0,vc1,vc0) = */
/*    (0,0,0,0:vw4); (0,0,1,0:vw4); (0,0,2,0:vw4); (0,0,3,0:vw4); (0,0,4,0:vw4); (0,0,5,0:vw4); (0,0,6,0:vw4); (0,0,7,0:vw4); (1,0,0,0:vw4); (1,0,1,0:vw4); (1,0,2,0:vw4); (1,0,3,0:vw4); (1,0,4,0:vw4); (1,0,5,0:vw4); (1,0,6,0:vw4); (1,0,7,0:vw4); (2,0,0,0:vw4); (2,0,1,0:vw4); (2,0,2,0:vw4); (2,0,3,0:vw4); (2,0,4,0:vw4); (2,0,5,0:vw4); (2,0,6,0:vw4); (2,0,7,0:vw4); (3,0,0,0:vw4); (3,0,1,0:vw4); (3,0,2,0:vw4); (3,0,3,0:vw4); (3,0,4,0:vw4); (3,0,5,0:vw4); (3,0,6,0:vw4); (3,0,7,0:vw4); (4,0,0,0:vw4); (4,0,1,0:vw4); (4,0,2,0:vw4); (4,0,3,0:vw4); (4,0,4,0:vw4); (4,0,5,0:vw4); (4,0,6,0:vw4); (4,0,7,0:vw4); (5,0,0,0:vw4); (5,0,1,0:vw4); (5,0,2,0:vw4); (5,0,3,0:vw4); (5,0,4,0:vw4); (5,0,5,0:vw4); (5,0,6,0:vw4); (5,0,7,0:vw4); (6,0,0,0:vw4); (6,0,1,0:vw4); (6,0,2,0:vw4); (6,0,3,0:vw4); (6,0,4,0:vw4); (6,0,5,0:vw4); (6,0,6,0:vw4); (6,0,7,0:vw4); (7,0,0,0:vw4); (7,0,1,0:vw4); (7,0,2,0:vw4); (7,0,3,0:vw4) */
/******************************************/

/* calc coords, apply mask, and issue loads (if necessary) */
/* (d1,vc1,d0,vc0)=(0,0,0,0) */
/* (d1,vc1,d0,vc0)=(0,1,0,0) */
	;; [unrolled: 1-line block ×60, first 2 shown]
_v_add_lshl_u32 v10, v3, v0, 0x1                   // optSingleColVgpr scaleToBpe: sharedAddrVgpr <- cinRowPtr + coord0, scaled by BPE. BSHERE:coord0=0, coord0Vgpr=0
v_accvgpr_read_b32 v[vgprValuC+12], acc0 // copy acc to vreg[0]
v_accvgpr_read_b32 v[vgprValuC+13], acc4 // copy acc to vreg[1]
v_accvgpr_read_b32 v[vgprValuC+14], acc8 // copy acc to vreg[2]
v_accvgpr_read_b32 v[vgprValuC+15], acc12 // copy acc to vreg[3]
v_accvgpr_read_b32 v[vgprValuC+16], acc16 // copy acc to vreg[4]
v_accvgpr_read_b32 v[vgprValuC+17], acc20 // copy acc to vreg[5]
v_accvgpr_read_b32 v[vgprValuC+18], acc24 // copy acc to vreg[6]
v_accvgpr_read_b32 v[vgprValuC+19], acc28 // copy acc to vreg[7]
v_accvgpr_read_b32 v[vgprValuC+20], acc1 // copy acc to vreg[8]
v_accvgpr_read_b32 v[vgprValuC+21], acc5 // copy acc to vreg[9]
v_accvgpr_read_b32 v[vgprValuC+22], acc9 // copy acc to vreg[10]
v_accvgpr_read_b32 v[vgprValuC+23], acc13 // copy acc to vreg[11]
v_accvgpr_read_b32 v[vgprValuC+24], acc17 // copy acc to vreg[12]
v_accvgpr_read_b32 v[vgprValuC+25], acc21 // copy acc to vreg[13]
v_accvgpr_read_b32 v[vgprValuC+26], acc25 // copy acc to vreg[14]
v_accvgpr_read_b32 v[vgprValuC+27], acc29 // copy acc to vreg[15]
v_accvgpr_read_b32 v[vgprValuC+28], acc2 // copy acc to vreg[16]
v_accvgpr_read_b32 v[vgprValuC+29], acc6 // copy acc to vreg[17]
v_accvgpr_read_b32 v[vgprValuC+30], acc10 // copy acc to vreg[18]
v_accvgpr_read_b32 v[vgprValuC+31], acc14 // copy acc to vreg[19]
v_accvgpr_read_b32 v[vgprValuC+32], acc18 // copy acc to vreg[20]
v_accvgpr_read_b32 v[vgprValuC+33], acc22 // copy acc to vreg[21]
v_accvgpr_read_b32 v[vgprValuC+34], acc26 // copy acc to vreg[22]
v_accvgpr_read_b32 v[vgprValuC+35], acc30 // copy acc to vreg[23]
v_accvgpr_read_b32 v[vgprValuC+36], acc3 // copy acc to vreg[24]
v_accvgpr_read_b32 v[vgprValuC+37], acc7 // copy acc to vreg[25]
v_accvgpr_read_b32 v[vgprValuC+38], acc11 // copy acc to vreg[26]
v_accvgpr_read_b32 v[vgprValuC+39], acc15 // copy acc to vreg[27]
v_accvgpr_read_b32 v[vgprValuC+40], acc19 // copy acc to vreg[28]
v_accvgpr_read_b32 v[vgprValuC+41], acc23 // copy acc to vreg[29]
v_accvgpr_read_b32 v[vgprValuC+42], acc27 // copy acc to vreg[30]
v_accvgpr_read_b32 v[vgprValuC+43], acc31 // copy acc to vreg[31]
v_accvgpr_read_b32 v[vgprValuC+44], acc32 // copy acc to vreg[32]
v_accvgpr_read_b32 v[vgprValuC+45], acc36 // copy acc to vreg[33]
v_accvgpr_read_b32 v[vgprValuC+46], acc40 // copy acc to vreg[34]
v_accvgpr_read_b32 v[vgprValuC+47], acc44 // copy acc to vreg[35]
v_accvgpr_read_b32 v[vgprValuC+48], acc48 // copy acc to vreg[36]
v_accvgpr_read_b32 v[vgprValuC+49], acc52 // copy acc to vreg[37]
v_accvgpr_read_b32 v[vgprValuC+50], acc56 // copy acc to vreg[38]
v_accvgpr_read_b32 v[vgprValuC+51], acc60 // copy acc to vreg[39]
v_accvgpr_read_b32 v[vgprValuC+52], acc33 // copy acc to vreg[40]
v_accvgpr_read_b32 v[vgprValuC+53], acc37 // copy acc to vreg[41]
v_accvgpr_read_b32 v[vgprValuC+54], acc41 // copy acc to vreg[42]
v_accvgpr_read_b32 v[vgprValuC+55], acc45 // copy acc to vreg[43]
v_accvgpr_read_b32 v[vgprValuC+56], acc49 // copy acc to vreg[44]
v_accvgpr_read_b32 v[vgprValuC+57], acc53 // copy acc to vreg[45]
v_accvgpr_read_b32 v[vgprValuC+58], acc57 // copy acc to vreg[46]
v_accvgpr_read_b32 v[vgprValuC+59], acc61 // copy acc to vreg[47]
v_accvgpr_read_b32 v[vgprValuC+60], acc34 // copy acc to vreg[48]
v_accvgpr_read_b32 v[vgprValuC+61], acc38 // copy acc to vreg[49]
v_accvgpr_read_b32 v[vgprValuC+62], acc42 // copy acc to vreg[50]
v_accvgpr_read_b32 v[vgprValuC+63], acc46 // copy acc to vreg[51]
v_accvgpr_read_b32 v[vgprValuC+64], acc50 // copy acc to vreg[52]
v_accvgpr_read_b32 v[vgprValuC+65], acc54 // copy acc to vreg[53]
v_accvgpr_read_b32 v[vgprValuC+66], acc58 // copy acc to vreg[54]
v_accvgpr_read_b32 v[vgprValuC+67], acc62 // copy acc to vreg[55]
v_accvgpr_read_b32 v[vgprValuC+68], acc35 // copy acc to vreg[56]
v_accvgpr_read_b32 v[vgprValuC+69], acc39 // copy acc to vreg[57]
v_accvgpr_read_b32 v[vgprValuC+70], acc43 // copy acc to vreg[58]
v_accvgpr_read_b32 v[vgprValuC+71], acc47 // copy acc to vreg[59]
v_accvgpr_read_b32 v[vgprValuC+72], acc51 // copy acc to vreg[60]
v_accvgpr_read_b32 v[vgprValuC+73], acc55 // copy acc to vreg[61]
v_accvgpr_read_b32 v[vgprValuC+74], acc59 // copy acc to vreg[62]
v_accvgpr_read_b32 v[vgprValuC+75], acc63 // copy acc to vreg[63]
v_accvgpr_read_b32 v[vgprValuC+76], acc64 // copy acc to vreg[64]
v_accvgpr_read_b32 v[vgprValuC+77], acc68 // copy acc to vreg[65]
v_accvgpr_read_b32 v[vgprValuC+78], acc72 // copy acc to vreg[66]
v_accvgpr_read_b32 v[vgprValuC+79], acc76 // copy acc to vreg[67]
v_accvgpr_read_b32 v[vgprValuC+80], acc80 // copy acc to vreg[68]
v_accvgpr_read_b32 v[vgprValuC+81], acc84 // copy acc to vreg[69]
v_accvgpr_read_b32 v[vgprValuC+82], acc88 // copy acc to vreg[70]
v_accvgpr_read_b32 v[vgprValuC+83], acc92 // copy acc to vreg[71]
v_accvgpr_read_b32 v[vgprValuC+84], acc65 // copy acc to vreg[72]
v_accvgpr_read_b32 v[vgprValuC+85], acc69 // copy acc to vreg[73]
v_accvgpr_read_b32 v[vgprValuC+86], acc73 // copy acc to vreg[74]
v_accvgpr_read_b32 v[vgprValuC+87], acc77 // copy acc to vreg[75]
v_accvgpr_read_b32 v[vgprValuC+88], acc81 // copy acc to vreg[76]
v_accvgpr_read_b32 v[vgprValuC+89], acc85 // copy acc to vreg[77]
v_accvgpr_read_b32 v[vgprValuC+90], acc89 // copy acc to vreg[78]
v_accvgpr_read_b32 v[vgprValuC+91], acc93 // copy acc to vreg[79]
v_accvgpr_read_b32 v[vgprValuC+92], acc66 // copy acc to vreg[80]
v_accvgpr_read_b32 v[vgprValuC+93], acc70 // copy acc to vreg[81]
v_accvgpr_read_b32 v[vgprValuC+94], acc74 // copy acc to vreg[82]
v_accvgpr_read_b32 v[vgprValuC+95], acc78 // copy acc to vreg[83]
v_accvgpr_read_b32 v[vgprValuC+96], acc82 // copy acc to vreg[84]
v_accvgpr_read_b32 v[vgprValuC+97], acc86 // copy acc to vreg[85]
v_accvgpr_read_b32 v[vgprValuC+98], acc90 // copy acc to vreg[86]
v_accvgpr_read_b32 v[vgprValuC+99], acc94 // copy acc to vreg[87]
v_accvgpr_read_b32 v[vgprValuC+100], acc67 // copy acc to vreg[88]
v_accvgpr_read_b32 v[vgprValuC+101], acc71 // copy acc to vreg[89]
v_accvgpr_read_b32 v[vgprValuC+102], acc75 // copy acc to vreg[90]
v_accvgpr_read_b32 v[vgprValuC+103], acc79 // copy acc to vreg[91]
v_accvgpr_read_b32 v[vgprValuC+104], acc83 // copy acc to vreg[92]
v_accvgpr_read_b32 v[vgprValuC+105], acc87 // copy acc to vreg[93]
v_accvgpr_read_b32 v[vgprValuC+106], acc91 // copy acc to vreg[94]
v_accvgpr_read_b32 v[vgprValuC+107], acc95 // copy acc to vreg[95]
v_accvgpr_read_b32 v[vgprValuC+108], acc96 // copy acc to vreg[96]
v_accvgpr_read_b32 v[vgprValuC+109], acc100 // copy acc to vreg[97]
v_accvgpr_read_b32 v[vgprValuC+110], acc104 // copy acc to vreg[98]
v_accvgpr_read_b32 v[vgprValuC+111], acc108 // copy acc to vreg[99]
v_accvgpr_read_b32 v[vgprValuC+112], acc112 // copy acc to vreg[100]
v_accvgpr_read_b32 v[vgprValuC+113], acc116 // copy acc to vreg[101]
v_accvgpr_read_b32 v[vgprValuC+114], acc120 // copy acc to vreg[102]
v_accvgpr_read_b32 v[vgprValuC+115], acc124 // copy acc to vreg[103]
v_accvgpr_read_b32 v[vgprValuC+116], acc97 // copy acc to vreg[104]
v_accvgpr_read_b32 v[vgprValuC+117], acc101 // copy acc to vreg[105]
v_accvgpr_read_b32 v[vgprValuC+118], acc105 // copy acc to vreg[106]
v_accvgpr_read_b32 v[vgprValuC+119], acc109 // copy acc to vreg[107]
v_accvgpr_read_b32 v[vgprValuC+120], acc113 // copy acc to vreg[108]
v_accvgpr_read_b32 v[vgprValuC+121], acc117 // copy acc to vreg[109]
v_accvgpr_read_b32 v[vgprValuC+122], acc121 // copy acc to vreg[110]
v_accvgpr_read_b32 v[vgprValuC+123], acc125 // copy acc to vreg[111]
v_accvgpr_read_b32 v[vgprValuC+124], acc98 // copy acc to vreg[112]
v_accvgpr_read_b32 v[vgprValuC+125], acc102 // copy acc to vreg[113]
v_accvgpr_read_b32 v[vgprValuC+126], acc106 // copy acc to vreg[114]
v_accvgpr_read_b32 v[vgprValuC+127], acc110 // copy acc to vreg[115]
v_accvgpr_read_b32 v[vgprValuC+128], acc114 // copy acc to vreg[116]
v_accvgpr_read_b32 v[vgprValuC+129], acc118 // copy acc to vreg[117]
v_accvgpr_read_b32 v[vgprValuC+130], acc122 // copy acc to vreg[118]
v_accvgpr_read_b32 v[vgprValuC+131], acc126 // copy acc to vreg[119]
v_accvgpr_read_b32 v[vgprValuC+132], acc99 // copy acc to vreg[120]
v_accvgpr_read_b32 v[vgprValuC+133], acc103 // copy acc to vreg[121]
v_accvgpr_read_b32 v[vgprValuC+134], acc107 // copy acc to vreg[122]
v_accvgpr_read_b32 v[vgprValuC+135], acc111 // copy acc to vreg[123]
v_accvgpr_read_b32 v[vgprValuC+136], acc115 // copy acc to vreg[124]
v_accvgpr_read_b32 v[vgprValuC+137], acc119 // copy acc to vreg[125]
v_accvgpr_read_b32 v[vgprValuC+138], acc123 // copy acc to vreg[126]
v_accvgpr_read_b32 v[vgprValuC+139], acc127 // copy acc to vreg[127]
v_accvgpr_read_b32 v[vgprValuC+140], acc128 // copy acc to vreg[128]
v_accvgpr_read_b32 v[vgprValuC+141], acc132 // copy acc to vreg[129]
v_accvgpr_read_b32 v[vgprValuC+142], acc136 // copy acc to vreg[130]
v_accvgpr_read_b32 v[vgprValuC+143], acc140 // copy acc to vreg[131]
v_accvgpr_read_b32 v[vgprValuC+144], acc144 // copy acc to vreg[132]
v_accvgpr_read_b32 v[vgprValuC+145], acc148 // copy acc to vreg[133]
v_accvgpr_read_b32 v[vgprValuC+146], acc152 // copy acc to vreg[134]
v_accvgpr_read_b32 v[vgprValuC+147], acc156 // copy acc to vreg[135]
v_accvgpr_read_b32 v[vgprValuC+148], acc129 // copy acc to vreg[136]
v_accvgpr_read_b32 v[vgprValuC+149], acc133 // copy acc to vreg[137]
v_accvgpr_read_b32 v[vgprValuC+150], acc137 // copy acc to vreg[138]
v_accvgpr_read_b32 v[vgprValuC+151], acc141 // copy acc to vreg[139]
v_accvgpr_read_b32 v[vgprValuC+152], acc145 // copy acc to vreg[140]
v_accvgpr_read_b32 v[vgprValuC+153], acc149 // copy acc to vreg[141]
v_accvgpr_read_b32 v[vgprValuC+154], acc153 // copy acc to vreg[142]
v_accvgpr_read_b32 v[vgprValuC+155], acc157 // copy acc to vreg[143]
v_accvgpr_read_b32 v[vgprValuC+156], acc130 // copy acc to vreg[144]
v_accvgpr_read_b32 v[vgprValuC+157], acc134 // copy acc to vreg[145]
v_accvgpr_read_b32 v[vgprValuC+158], acc138 // copy acc to vreg[146]
v_accvgpr_read_b32 v[vgprValuC+159], acc142 // copy acc to vreg[147]
v_accvgpr_read_b32 v[vgprValuC+160], acc146 // copy acc to vreg[148]
v_accvgpr_read_b32 v[vgprValuC+161], acc150 // copy acc to vreg[149]
v_accvgpr_read_b32 v[vgprValuC+162], acc154 // copy acc to vreg[150]
v_accvgpr_read_b32 v[vgprValuC+163], acc158 // copy acc to vreg[151]
v_accvgpr_read_b32 v[vgprValuC+164], acc131 // copy acc to vreg[152]
v_accvgpr_read_b32 v[vgprValuC+165], acc135 // copy acc to vreg[153]
v_accvgpr_read_b32 v[vgprValuC+166], acc139 // copy acc to vreg[154]
v_accvgpr_read_b32 v[vgprValuC+167], acc143 // copy acc to vreg[155]
v_accvgpr_read_b32 v[vgprValuC+168], acc147 // copy acc to vreg[156]
v_accvgpr_read_b32 v[vgprValuC+169], acc151 // copy acc to vreg[157]
v_accvgpr_read_b32 v[vgprValuC+170], acc155 // copy acc to vreg[158]
v_accvgpr_read_b32 v[vgprValuC+171], acc159 // copy acc to vreg[159]
v_accvgpr_read_b32 v[vgprValuC+172], acc160 // copy acc to vreg[160]
v_accvgpr_read_b32 v[vgprValuC+173], acc164 // copy acc to vreg[161]
v_accvgpr_read_b32 v[vgprValuC+174], acc168 // copy acc to vreg[162]
v_accvgpr_read_b32 v[vgprValuC+175], acc172 // copy acc to vreg[163]
v_accvgpr_read_b32 v[vgprValuC+176], acc176 // copy acc to vreg[164]
v_accvgpr_read_b32 v[vgprValuC+177], acc180 // copy acc to vreg[165]
v_accvgpr_read_b32 v[vgprValuC+178], acc184 // copy acc to vreg[166]
v_accvgpr_read_b32 v[vgprValuC+179], acc188 // copy acc to vreg[167]
v_accvgpr_read_b32 v[vgprValuC+180], acc161 // copy acc to vreg[168]
v_accvgpr_read_b32 v[vgprValuC+181], acc165 // copy acc to vreg[169]
v_accvgpr_read_b32 v[vgprValuC+182], acc169 // copy acc to vreg[170]
v_accvgpr_read_b32 v[vgprValuC+183], acc173 // copy acc to vreg[171]
v_accvgpr_read_b32 v[vgprValuC+184], acc177 // copy acc to vreg[172]
v_accvgpr_read_b32 v[vgprValuC+185], acc181 // copy acc to vreg[173]
v_accvgpr_read_b32 v[vgprValuC+186], acc185 // copy acc to vreg[174]
v_accvgpr_read_b32 v[vgprValuC+187], acc189 // copy acc to vreg[175]
v_accvgpr_read_b32 v[vgprValuC+188], acc162 // copy acc to vreg[176]
v_accvgpr_read_b32 v[vgprValuC+189], acc166 // copy acc to vreg[177]
v_accvgpr_read_b32 v[vgprValuC+190], acc170 // copy acc to vreg[178]
v_accvgpr_read_b32 v[vgprValuC+191], acc174 // copy acc to vreg[179]
v_accvgpr_read_b32 v[vgprValuC+192], acc178 // copy acc to vreg[180]
v_accvgpr_read_b32 v[vgprValuC+193], acc182 // copy acc to vreg[181]
v_accvgpr_read_b32 v[vgprValuC+194], acc186 // copy acc to vreg[182]
v_accvgpr_read_b32 v[vgprValuC+195], acc190 // copy acc to vreg[183]
v_accvgpr_read_b32 v[vgprValuC+196], acc163 // copy acc to vreg[184]
v_accvgpr_read_b32 v[vgprValuC+197], acc167 // copy acc to vreg[185]
v_accvgpr_read_b32 v[vgprValuC+198], acc171 // copy acc to vreg[186]
v_accvgpr_read_b32 v[vgprValuC+199], acc175 // copy acc to vreg[187]
v_accvgpr_read_b32 v[vgprValuC+200], acc179 // copy acc to vreg[188]
v_accvgpr_read_b32 v[vgprValuC+201], acc183 // copy acc to vreg[189]
v_accvgpr_read_b32 v[vgprValuC+202], acc187 // copy acc to vreg[190]
v_accvgpr_read_b32 v[vgprValuC+203], acc191 // copy acc to vreg[191]
v_accvgpr_read_b32 v[vgprValuC+204], acc192 // copy acc to vreg[192]
v_accvgpr_read_b32 v[vgprValuC+205], acc196 // copy acc to vreg[193]
v_accvgpr_read_b32 v[vgprValuC+206], acc200 // copy acc to vreg[194]
v_accvgpr_read_b32 v[vgprValuC+207], acc204 // copy acc to vreg[195]
v_accvgpr_read_b32 v[vgprValuC+208], acc208 // copy acc to vreg[196]
v_accvgpr_read_b32 v[vgprValuC+209], acc212 // copy acc to vreg[197]
v_accvgpr_read_b32 v[vgprValuC+210], acc216 // copy acc to vreg[198]
v_accvgpr_read_b32 v[vgprValuC+211], acc220 // copy acc to vreg[199]
v_accvgpr_read_b32 v[vgprValuC+212], acc193 // copy acc to vreg[200]
v_accvgpr_read_b32 v[vgprValuC+213], acc197 // copy acc to vreg[201]
v_accvgpr_read_b32 v[vgprValuC+214], acc201 // copy acc to vreg[202]
v_accvgpr_read_b32 v[vgprValuC+215], acc205 // copy acc to vreg[203]
v_accvgpr_read_b32 v[vgprValuC+220], acc209 // copy acc to vreg[204]
v_accvgpr_read_b32 v[vgprValuC+221], acc213 // copy acc to vreg[205]
v_accvgpr_read_b32 v[vgprValuC+222], acc217 // copy acc to vreg[206]
v_accvgpr_read_b32 v[vgprValuC+223], acc221 // copy acc to vreg[207]
v_accvgpr_read_b32 v[vgprValuC+224], acc194 // copy acc to vreg[208]
v_accvgpr_read_b32 v[vgprValuC+225], acc198 // copy acc to vreg[209]
v_accvgpr_read_b32 v[vgprValuC+226], acc202 // copy acc to vreg[210]
v_accvgpr_read_b32 v[vgprValuC+227], acc206 // copy acc to vreg[211]
v_accvgpr_read_b32 v[vgprValuC+228], acc210 // copy acc to vreg[212]
v_accvgpr_read_b32 v[vgprValuC+229], acc214 // copy acc to vreg[213]
v_accvgpr_read_b32 v[vgprValuC+230], acc218 // copy acc to vreg[214]
v_accvgpr_read_b32 v[vgprValuC+231], acc222 // copy acc to vreg[215]
v_accvgpr_read_b32 v[vgprValuC+232], acc195 // copy acc to vreg[216]
v_accvgpr_read_b32 v[vgprValuC+233], acc199 // copy acc to vreg[217]
v_accvgpr_read_b32 v[vgprValuC+234], acc203 // copy acc to vreg[218]
v_accvgpr_read_b32 v[vgprValuC+235], acc207 // copy acc to vreg[219]
v_accvgpr_read_b32 v[vgprValuC+236], acc211 // copy acc to vreg[220]
v_accvgpr_read_b32 v[vgprValuC+237], acc215 // copy acc to vreg[221]
v_accvgpr_read_b32 v[vgprValuC+238], acc219 // copy acc to vreg[222]
v_accvgpr_read_b32 v[vgprValuC+239], acc223 // copy acc to vreg[223]
v_accvgpr_read_b32 v[vgprValuC+240], acc224 // copy acc to vreg[224]
v_accvgpr_read_b32 v[vgprValuC+241], acc228 // copy acc to vreg[225]
v_accvgpr_read_b32 v[vgprValuC+242], acc232 // copy acc to vreg[226]
v_accvgpr_read_b32 v[vgprValuC+243], acc236 // copy acc to vreg[227]
v_accvgpr_read_b32 v[vgprValuC+244], acc240 // copy acc to vreg[228]
v_accvgpr_read_b32 v[vgprValuC+245], acc244 // copy acc to vreg[229]
v_accvgpr_read_b32 v[vgprValuC+246], acc248 // copy acc to vreg[230]
v_accvgpr_read_b32 v[vgprValuC+247], acc252 // copy acc to vreg[231]
v_accvgpr_read_b32 v[vgprValuC+248], acc225 // copy acc to vreg[232]
v_accvgpr_read_b32 v[vgprValuC+249], acc229 // copy acc to vreg[233]
v_accvgpr_read_b32 v[vgprValuC+250], acc233 // copy acc to vreg[234]
v_accvgpr_read_b32 v[vgprValuC+251], acc237 // copy acc to vreg[235]
v_accvgpr_read_b32 v[vgprValuC+252], acc241 // copy acc to vreg[236]
v_accvgpr_read_b32 v[vgprValuC+253], acc245 // copy acc to vreg[237]
v_accvgpr_read_b32 v[vgprValuC+254], acc249 // copy acc to vreg[238]
v_accvgpr_read_b32 v[vgprValuC+255], acc253 // copy acc to vreg[239]
s_nop 1                                            // 2 wait states required before reading vgpr

/* apply mask, calc new C and issue writes */
v_mov_b32 v7, 0xffff0000                           // mask for pack two bfloat16 element to 32bit
v_mov_b32 v8, 0x7fff0000                           // fp32 Nan
v_mov_b32 v9, 0x7fff                               // rounding bias for bfloat16
v_cmp_u_f32 s[34:35], v[vgprValuC+12], v[vgprValuC+12] // check Nan
v_bfe_u32 v6, v[vgprValuC+12], 16, 1               // Non-Nan case: store lsb of bf16
v_add3_u32 v6, v[vgprValuC+12], v6, v9             // Non-Nan case: add lsb and the increment for rounding
v_cndmask_b32 v[vgprValuC+12], v6, v8, s[34:35]    // 
v_lshrrev_b32 v[vgprValuC+12], 16, v[vgprValuC+12] // convert C to bf16
v_cmp_u_f32 s[34:35], v[vgprValuC+13], v[vgprValuC+13] // check Nan
v_bfe_u32 v6, v[vgprValuC+13], 16, 1               // Non-Nan case: store lsb of bf16
v_add3_u32 v6, v[vgprValuC+13], v6, v9             // Non-Nan case: add lsb and the increment for rounding
v_cndmask_b32 v[vgprValuC+13], v6, v8, s[34:35]    // 
v_and_or_b32 v12, v[vgprValuC+13], v7, v[vgprValuC+12] // pack two bf16 to dword
v_cmp_u_f32 s[34:35], v[vgprValuC+14], v[vgprValuC+14] // check Nan
v_bfe_u32 v6, v[vgprValuC+14], 16, 1               // Non-Nan case: store lsb of bf16
v_add3_u32 v6, v[vgprValuC+14], v6, v9             // Non-Nan case: add lsb and the increment for rounding
v_cndmask_b32 v[vgprValuC+14], v6, v8, s[34:35]    // 
v_lshrrev_b32 v[vgprValuC+14], 16, v[vgprValuC+14] // convert C to bf16
v_cmp_u_f32 s[34:35], v[vgprValuC+15], v[vgprValuC+15] // check Nan
v_bfe_u32 v6, v[vgprValuC+15], 16, 1               // Non-Nan case: store lsb of bf16
v_add3_u32 v6, v[vgprValuC+15], v6, v9             // Non-Nan case: add lsb and the increment for rounding
v_cndmask_b32 v[vgprValuC+15], v6, v8, s[34:35]    // 
v_and_or_b32 v13, v[vgprValuC+15], v7, v[vgprValuC+14] // pack two bf16 to dword
_buffer_store_b64 v[12:13], v10, s[sgprSrdD:sgprSrdD+3], 0, offen, offset:0,  sc0 sc1 // store D
v_cmp_u_f32 s[34:35], v[vgprValuC+16], v[vgprValuC+16] // check Nan
v_bfe_u32 v6, v[vgprValuC+16], 16, 1               // Non-Nan case: store lsb of bf16
v_add3_u32 v6, v[vgprValuC+16], v6, v9             // Non-Nan case: add lsb and the increment for rounding
v_cndmask_b32 v[vgprValuC+16], v6, v8, s[34:35]    // 
v_lshrrev_b32 v[vgprValuC+16], 16, v[vgprValuC+16] // convert C to bf16
v_cmp_u_f32 s[34:35], v[vgprValuC+17], v[vgprValuC+17] // check Nan
v_bfe_u32 v6, v[vgprValuC+17], 16, 1               // Non-Nan case: store lsb of bf16
v_add3_u32 v6, v[vgprValuC+17], v6, v9             // Non-Nan case: add lsb and the increment for rounding
v_cndmask_b32 v[vgprValuC+17], v6, v8, s[34:35]    // 
v_and_or_b32 v16, v[vgprValuC+17], v7, v[vgprValuC+16] // pack two bf16 to dword
v_cmp_u_f32 s[34:35], v[vgprValuC+18], v[vgprValuC+18] // check Nan
v_bfe_u32 v6, v[vgprValuC+18], 16, 1               // Non-Nan case: store lsb of bf16
v_add3_u32 v6, v[vgprValuC+18], v6, v9             // Non-Nan case: add lsb and the increment for rounding
v_cndmask_b32 v[vgprValuC+18], v6, v8, s[34:35]    // 
v_lshrrev_b32 v[vgprValuC+18], 16, v[vgprValuC+18] // convert C to bf16
v_cmp_u_f32 s[34:35], v[vgprValuC+19], v[vgprValuC+19] // check Nan
v_bfe_u32 v6, v[vgprValuC+19], 16, 1               // Non-Nan case: store lsb of bf16
v_add3_u32 v6, v[vgprValuC+19], v6, v9             // Non-Nan case: add lsb and the increment for rounding
v_cndmask_b32 v[vgprValuC+19], v6, v8, s[34:35]    // 
v_and_or_b32 v17, v[vgprValuC+19], v7, v[vgprValuC+18] // pack two bf16 to dword
s_lshl_b32  s34, s[sgprStrideD1J], 1               // incToNextRow: Scale by BPE
s_add_u32  s[sgprSrdD+0], s[sgprSrdD+0], s34       // incToNextRow: gra SRD += inc(lower)
s_addc_u32  s[sgprSrdD+1], s[sgprSrdD+1], 0        // incToNextRow: gra SRD += inc(upper)
_buffer_store_b64 v[16:17], v10, s[sgprSrdD:sgprSrdD+3], 0, offen, offset:0,  sc0 sc1 // store D
v_cmp_u_f32 s[34:35], v[vgprValuC+20], v[vgprValuC+20] // check Nan
v_bfe_u32 v6, v[vgprValuC+20], 16, 1               // Non-Nan case: store lsb of bf16
v_add3_u32 v6, v[vgprValuC+20], v6, v9             // Non-Nan case: add lsb and the increment for rounding
v_cndmask_b32 v[vgprValuC+20], v6, v8, s[34:35]    // 
v_lshrrev_b32 v[vgprValuC+20], 16, v[vgprValuC+20] // convert C to bf16
v_cmp_u_f32 s[34:35], v[vgprValuC+21], v[vgprValuC+21] // check Nan
v_bfe_u32 v6, v[vgprValuC+21], 16, 1               // Non-Nan case: store lsb of bf16
v_add3_u32 v6, v[vgprValuC+21], v6, v9             // Non-Nan case: add lsb and the increment for rounding
v_cndmask_b32 v[vgprValuC+21], v6, v8, s[34:35]    // 
v_and_or_b32 v20, v[vgprValuC+21], v7, v[vgprValuC+20] // pack two bf16 to dword
v_cmp_u_f32 s[34:35], v[vgprValuC+22], v[vgprValuC+22] // check Nan
v_bfe_u32 v6, v[vgprValuC+22], 16, 1               // Non-Nan case: store lsb of bf16
v_add3_u32 v6, v[vgprValuC+22], v6, v9             // Non-Nan case: add lsb and the increment for rounding
v_cndmask_b32 v[vgprValuC+22], v6, v8, s[34:35]    // 
v_lshrrev_b32 v[vgprValuC+22], 16, v[vgprValuC+22] // convert C to bf16
v_cmp_u_f32 s[34:35], v[vgprValuC+23], v[vgprValuC+23] // check Nan
v_bfe_u32 v6, v[vgprValuC+23], 16, 1               // Non-Nan case: store lsb of bf16
v_add3_u32 v6, v[vgprValuC+23], v6, v9             // Non-Nan case: add lsb and the increment for rounding
v_cndmask_b32 v[vgprValuC+23], v6, v8, s[34:35]    // 
v_and_or_b32 v21, v[vgprValuC+23], v7, v[vgprValuC+22] // pack two bf16 to dword
s_lshl_b32  s34, s[sgprStrideD1J], 1               // incToNextRow: Scale by BPE
s_add_u32  s[sgprSrdD+0], s[sgprSrdD+0], s34       // incToNextRow: gra SRD += inc(lower)
s_addc_u32  s[sgprSrdD+1], s[sgprSrdD+1], 0        // incToNextRow: gra SRD += inc(upper)
	;; [unrolled: 24-line block ×7, first 2 shown]
_buffer_store_b64 v[40:41], v10, s[sgprSrdD:sgprSrdD+3], 0, offen, offset:0,  sc0 sc1 // store D
v_cmp_u_f32 s[34:35], v[vgprValuC+44], v[vgprValuC+44] // check Nan
v_bfe_u32 v6, v[vgprValuC+44], 16, 1               // Non-Nan case: store lsb of bf16
v_add3_u32 v6, v[vgprValuC+44], v6, v9             // Non-Nan case: add lsb and the increment for rounding
v_cndmask_b32 v[vgprValuC+44], v6, v8, s[34:35]    // 
v_lshrrev_b32 v[vgprValuC+44], 16, v[vgprValuC+44] // convert C to bf16
v_cmp_u_f32 s[34:35], v[vgprValuC+45], v[vgprValuC+45] // check Nan
v_bfe_u32 v6, v[vgprValuC+45], 16, 1               // Non-Nan case: store lsb of bf16
v_add3_u32 v6, v[vgprValuC+45], v6, v9             // Non-Nan case: add lsb and the increment for rounding
v_cndmask_b32 v[vgprValuC+45], v6, v8, s[34:35]    // 
v_and_or_b32 v44, v[vgprValuC+45], v7, v[vgprValuC+44] // pack two bf16 to dword
v_cmp_u_f32 s[34:35], v[vgprValuC+46], v[vgprValuC+46] // check Nan
v_bfe_u32 v6, v[vgprValuC+46], 16, 1               // Non-Nan case: store lsb of bf16
v_add3_u32 v6, v[vgprValuC+46], v6, v9             // Non-Nan case: add lsb and the increment for rounding
v_cndmask_b32 v[vgprValuC+46], v6, v8, s[34:35]    // 
v_lshrrev_b32 v[vgprValuC+46], 16, v[vgprValuC+46] // convert C to bf16
v_cmp_u_f32 s[34:35], v[vgprValuC+47], v[vgprValuC+47] // check Nan
v_bfe_u32 v6, v[vgprValuC+47], 16, 1               // Non-Nan case: store lsb of bf16
v_add3_u32 v6, v[vgprValuC+47], v6, v9             // Non-Nan case: add lsb and the increment for rounding
v_cndmask_b32 v[vgprValuC+47], v6, v8, s[34:35]    // 
v_and_or_b32 v45, v[vgprValuC+47], v7, v[vgprValuC+46] // pack two bf16 to dword
s_mul_i32 s34, s[sgprStrideD1J], 50                // scale StrideD *= numRows(25) * bpe
s_add_u32  s[sgprSrdD+0], s[sgprSrdD+0], s34       // incToNextRow: gra SRD += inc(lower)
s_addc_u32  s[sgprSrdD+1], s[sgprSrdD+1], 0        // incToNextRow: gra SRD += inc(upper)
_buffer_store_b64 v[44:45], v10, s[sgprSrdD:sgprSrdD+3], 0, offen, offset:0,  sc0 sc1 // store D
v_cmp_u_f32 s[34:35], v[vgprValuC+48], v[vgprValuC+48] // check Nan
v_bfe_u32 v6, v[vgprValuC+48], 16, 1               // Non-Nan case: store lsb of bf16
v_add3_u32 v6, v[vgprValuC+48], v6, v9             // Non-Nan case: add lsb and the increment for rounding
v_cndmask_b32 v[vgprValuC+48], v6, v8, s[34:35]    // 
v_lshrrev_b32 v[vgprValuC+48], 16, v[vgprValuC+48] // convert C to bf16
v_cmp_u_f32 s[34:35], v[vgprValuC+49], v[vgprValuC+49] // check Nan
v_bfe_u32 v6, v[vgprValuC+49], 16, 1               // Non-Nan case: store lsb of bf16
v_add3_u32 v6, v[vgprValuC+49], v6, v9             // Non-Nan case: add lsb and the increment for rounding
v_cndmask_b32 v[vgprValuC+49], v6, v8, s[34:35]    // 
v_and_or_b32 v48, v[vgprValuC+49], v7, v[vgprValuC+48] // pack two bf16 to dword
v_cmp_u_f32 s[34:35], v[vgprValuC+50], v[vgprValuC+50] // check Nan
v_bfe_u32 v6, v[vgprValuC+50], 16, 1               // Non-Nan case: store lsb of bf16
v_add3_u32 v6, v[vgprValuC+50], v6, v9             // Non-Nan case: add lsb and the increment for rounding
v_cndmask_b32 v[vgprValuC+50], v6, v8, s[34:35]    // 
v_lshrrev_b32 v[vgprValuC+50], 16, v[vgprValuC+50] // convert C to bf16
v_cmp_u_f32 s[34:35], v[vgprValuC+51], v[vgprValuC+51] // check Nan
v_bfe_u32 v6, v[vgprValuC+51], 16, 1               // Non-Nan case: store lsb of bf16
v_add3_u32 v6, v[vgprValuC+51], v6, v9             // Non-Nan case: add lsb and the increment for rounding
v_cndmask_b32 v[vgprValuC+51], v6, v8, s[34:35]    // 
v_and_or_b32 v49, v[vgprValuC+51], v7, v[vgprValuC+50] // pack two bf16 to dword
s_lshl_b32  s34, s[sgprStrideD1J], 1               // incToNextRow: Scale by BPE
s_add_u32  s[sgprSrdD+0], s[sgprSrdD+0], s34       // incToNextRow: gra SRD += inc(lower)
s_addc_u32  s[sgprSrdD+1], s[sgprSrdD+1], 0        // incToNextRow: gra SRD += inc(upper)
_buffer_store_b64 v[48:49], v10, s[sgprSrdD:sgprSrdD+3], 0, offen, offset:0,  sc0 sc1 // store D
v_cmp_u_f32 s[34:35], v[vgprValuC+52], v[vgprValuC+52] // check Nan
v_bfe_u32 v6, v[vgprValuC+52], 16, 1               // Non-Nan case: store lsb of bf16
v_add3_u32 v6, v[vgprValuC+52], v6, v9             // Non-Nan case: add lsb and the increment for rounding
v_cndmask_b32 v[vgprValuC+52], v6, v8, s[34:35]    // 
v_lshrrev_b32 v[vgprValuC+52], 16, v[vgprValuC+52] // convert C to bf16
v_cmp_u_f32 s[34:35], v[vgprValuC+53], v[vgprValuC+53] // check Nan
v_bfe_u32 v6, v[vgprValuC+53], 16, 1               // Non-Nan case: store lsb of bf16
v_add3_u32 v6, v[vgprValuC+53], v6, v9             // Non-Nan case: add lsb and the increment for rounding
v_cndmask_b32 v[vgprValuC+53], v6, v8, s[34:35]    // 
v_and_or_b32 v52, v[vgprValuC+53], v7, v[vgprValuC+52] // pack two bf16 to dword
v_cmp_u_f32 s[34:35], v[vgprValuC+54], v[vgprValuC+54] // check Nan
v_bfe_u32 v6, v[vgprValuC+54], 16, 1               // Non-Nan case: store lsb of bf16
v_add3_u32 v6, v[vgprValuC+54], v6, v9             // Non-Nan case: add lsb and the increment for rounding
v_cndmask_b32 v[vgprValuC+54], v6, v8, s[34:35]    // 
v_lshrrev_b32 v[vgprValuC+54], 16, v[vgprValuC+54] // convert C to bf16
v_cmp_u_f32 s[34:35], v[vgprValuC+55], v[vgprValuC+55] // check Nan
v_bfe_u32 v6, v[vgprValuC+55], 16, 1               // Non-Nan case: store lsb of bf16
v_add3_u32 v6, v[vgprValuC+55], v6, v9             // Non-Nan case: add lsb and the increment for rounding
v_cndmask_b32 v[vgprValuC+55], v6, v8, s[34:35]    // 
v_and_or_b32 v53, v[vgprValuC+55], v7, v[vgprValuC+54] // pack two bf16 to dword
s_lshl_b32  s34, s[sgprStrideD1J], 1               // incToNextRow: Scale by BPE
s_add_u32  s[sgprSrdD+0], s[sgprSrdD+0], s34       // incToNextRow: gra SRD += inc(lower)
s_addc_u32  s[sgprSrdD+1], s[sgprSrdD+1], 0        // incToNextRow: gra SRD += inc(upper)
_buffer_store_b64 v[52:53], v10, s[sgprSrdD:sgprSrdD+3], 0, offen, offset:0,  sc0 sc1 // store D
v_cmp_u_f32 s[34:35], v[vgprValuC+56], v[vgprValuC+56] // check Nan
v_bfe_u32 v6, v[vgprValuC+56], 16, 1               // Non-Nan case: store lsb of bf16
v_add3_u32 v6, v[vgprValuC+56], v6, v9             // Non-Nan case: add lsb and the increment for rounding
v_cndmask_b32 v[vgprValuC+56], v6, v8, s[34:35]    // 
v_lshrrev_b32 v[vgprValuC+56], 16, v[vgprValuC+56] // convert C to bf16
v_cmp_u_f32 s[34:35], v[vgprValuC+57], v[vgprValuC+57] // check Nan
v_bfe_u32 v6, v[vgprValuC+57], 16, 1               // Non-Nan case: store lsb of bf16
v_add3_u32 v6, v[vgprValuC+57], v6, v9             // Non-Nan case: add lsb and the increment for rounding
v_cndmask_b32 v[vgprValuC+57], v6, v8, s[34:35]    // 
v_and_or_b32 v56, v[vgprValuC+57], v7, v[vgprValuC+56] // pack two bf16 to dword
v_cmp_u_f32 s[34:35], v[vgprValuC+58], v[vgprValuC+58] // check Nan
v_bfe_u32 v6, v[vgprValuC+58], 16, 1               // Non-Nan case: store lsb of bf16
v_add3_u32 v6, v[vgprValuC+58], v6, v9             // Non-Nan case: add lsb and the increment for rounding
v_cndmask_b32 v[vgprValuC+58], v6, v8, s[34:35]    // 
v_lshrrev_b32 v[vgprValuC+58], 16, v[vgprValuC+58] // convert C to bf16
v_cmp_u_f32 s[34:35], v[vgprValuC+59], v[vgprValuC+59] // check Nan
v_bfe_u32 v6, v[vgprValuC+59], 16, 1               // Non-Nan case: store lsb of bf16
v_add3_u32 v6, v[vgprValuC+59], v6, v9             // Non-Nan case: add lsb and the increment for rounding
v_cndmask_b32 v[vgprValuC+59], v6, v8, s[34:35]    // 
v_and_or_b32 v57, v[vgprValuC+59], v7, v[vgprValuC+58] // pack two bf16 to dword
s_lshl_b32  s34, s[sgprStrideD1J], 1               // incToNextRow: Scale by BPE
s_add_u32  s[sgprSrdD+0], s[sgprSrdD+0], s34       // incToNextRow: gra SRD += inc(lower)
s_addc_u32  s[sgprSrdD+1], s[sgprSrdD+1], 0        // incToNextRow: gra SRD += inc(upper)
_buffer_store_b64 v[56:57], v10, s[sgprSrdD:sgprSrdD+3], 0, offen, offset:0,  sc0 sc1 // store D
v_cmp_u_f32 s[34:35], v[vgprValuC+60], v[vgprValuC+60] // check Nan
v_bfe_u32 v6, v[vgprValuC+60], 16, 1               // Non-Nan case: store lsb of bf16
v_add3_u32 v6, v[vgprValuC+60], v6, v9             // Non-Nan case: add lsb and the increment for rounding
v_cndmask_b32 v[vgprValuC+60], v6, v8, s[34:35]    // 
v_lshrrev_b32 v[vgprValuC+60], 16, v[vgprValuC+60] // convert C to bf16
v_cmp_u_f32 s[34:35], v[vgprValuC+61], v[vgprValuC+61] // check Nan
v_bfe_u32 v6, v[vgprValuC+61], 16, 1               // Non-Nan case: store lsb of bf16
v_add3_u32 v6, v[vgprValuC+61], v6, v9             // Non-Nan case: add lsb and the increment for rounding
v_cndmask_b32 v[vgprValuC+61], v6, v8, s[34:35]    // 
v_and_or_b32 v60, v[vgprValuC+61], v7, v[vgprValuC+60] // pack two bf16 to dword
v_cmp_u_f32 s[34:35], v[vgprValuC+62], v[vgprValuC+62] // check Nan
v_bfe_u32 v6, v[vgprValuC+62], 16, 1               // Non-Nan case: store lsb of bf16
v_add3_u32 v6, v[vgprValuC+62], v6, v9             // Non-Nan case: add lsb and the increment for rounding
v_cndmask_b32 v[vgprValuC+62], v6, v8, s[34:35]    // 
v_lshrrev_b32 v[vgprValuC+62], 16, v[vgprValuC+62] // convert C to bf16
v_cmp_u_f32 s[34:35], v[vgprValuC+63], v[vgprValuC+63] // check Nan
v_bfe_u32 v6, v[vgprValuC+63], 16, 1               // Non-Nan case: store lsb of bf16
v_add3_u32 v6, v[vgprValuC+63], v6, v9             // Non-Nan case: add lsb and the increment for rounding
v_cndmask_b32 v[vgprValuC+63], v6, v8, s[34:35]    // 
v_and_or_b32 v61, v[vgprValuC+63], v7, v[vgprValuC+62] // pack two bf16 to dword
s_lshl_b32  s34, s[sgprStrideD1J], 1               // incToNextRow: Scale by BPE
s_add_u32  s[sgprSrdD+0], s[sgprSrdD+0], s34       // incToNextRow: gra SRD += inc(lower)
s_addc_u32  s[sgprSrdD+1], s[sgprSrdD+1], 0        // incToNextRow: gra SRD += inc(upper)
_buffer_store_b64 v[60:61], v10, s[sgprSrdD:sgprSrdD+3], 0, offen, offset:0,  sc0 sc1 // store D
v_cmp_u_f32 s[34:35], v[vgprValuC+64], v[vgprValuC+64] // check Nan
v_bfe_u32 v6, v[vgprValuC+64], 16, 1               // Non-Nan case: store lsb of bf16
v_add3_u32 v6, v[vgprValuC+64], v6, v9             // Non-Nan case: add lsb and the increment for rounding
v_cndmask_b32 v[vgprValuC+64], v6, v8, s[34:35]    // 
v_lshrrev_b32 v[vgprValuC+64], 16, v[vgprValuC+64] // convert C to bf16
v_cmp_u_f32 s[34:35], v[vgprValuC+65], v[vgprValuC+65] // check Nan
v_bfe_u32 v6, v[vgprValuC+65], 16, 1               // Non-Nan case: store lsb of bf16
v_add3_u32 v6, v[vgprValuC+65], v6, v9             // Non-Nan case: add lsb and the increment for rounding
v_cndmask_b32 v[vgprValuC+65], v6, v8, s[34:35]    // 
v_and_or_b32 v64, v[vgprValuC+65], v7, v[vgprValuC+64] // pack two bf16 to dword
v_cmp_u_f32 s[34:35], v[vgprValuC+66], v[vgprValuC+66] // check Nan
v_bfe_u32 v6, v[vgprValuC+66], 16, 1               // Non-Nan case: store lsb of bf16
v_add3_u32 v6, v[vgprValuC+66], v6, v9             // Non-Nan case: add lsb and the increment for rounding
v_cndmask_b32 v[vgprValuC+66], v6, v8, s[34:35]    // 
v_lshrrev_b32 v[vgprValuC+66], 16, v[vgprValuC+66] // convert C to bf16
v_cmp_u_f32 s[34:35], v[vgprValuC+67], v[vgprValuC+67] // check Nan
v_bfe_u32 v6, v[vgprValuC+67], 16, 1               // Non-Nan case: store lsb of bf16
v_add3_u32 v6, v[vgprValuC+67], v6, v9             // Non-Nan case: add lsb and the increment for rounding
v_cndmask_b32 v[vgprValuC+67], v6, v8, s[34:35]    // 
v_and_or_b32 v65, v[vgprValuC+67], v7, v[vgprValuC+66] // pack two bf16 to dword
s_lshl_b32  s34, s[sgprStrideD1J], 1               // incToNextRow: Scale by BPE
s_add_u32  s[sgprSrdD+0], s[sgprSrdD+0], s34       // incToNextRow: gra SRD += inc(lower)
s_addc_u32  s[sgprSrdD+1], s[sgprSrdD+1], 0        // incToNextRow: gra SRD += inc(upper)
_buffer_store_b64 v[64:65], v10, s[sgprSrdD:sgprSrdD+3], 0, offen, offset:0,  sc0 sc1 // store D
v_cmp_u_f32 s[34:35], v[vgprValuC+68], v[vgprValuC+68] // check Nan
v_bfe_u32 v6, v[vgprValuC+68], 16, 1               // Non-Nan case: store lsb of bf16
v_add3_u32 v6, v[vgprValuC+68], v6, v9             // Non-Nan case: add lsb and the increment for rounding
v_cndmask_b32 v[vgprValuC+68], v6, v8, s[34:35]    // 
v_lshrrev_b32 v[vgprValuC+68], 16, v[vgprValuC+68] // convert C to bf16
v_cmp_u_f32 s[34:35], v[vgprValuC+69], v[vgprValuC+69] // check Nan
v_bfe_u32 v6, v[vgprValuC+69], 16, 1               // Non-Nan case: store lsb of bf16
v_add3_u32 v6, v[vgprValuC+69], v6, v9             // Non-Nan case: add lsb and the increment for rounding
v_cndmask_b32 v[vgprValuC+69], v6, v8, s[34:35]    // 
v_and_or_b32 v68, v[vgprValuC+69], v7, v[vgprValuC+68] // pack two bf16 to dword
v_cmp_u_f32 s[34:35], v[vgprValuC+70], v[vgprValuC+70] // check Nan
v_bfe_u32 v6, v[vgprValuC+70], 16, 1               // Non-Nan case: store lsb of bf16
v_add3_u32 v6, v[vgprValuC+70], v6, v9             // Non-Nan case: add lsb and the increment for rounding
v_cndmask_b32 v[vgprValuC+70], v6, v8, s[34:35]    // 
v_lshrrev_b32 v[vgprValuC+70], 16, v[vgprValuC+70] // convert C to bf16
v_cmp_u_f32 s[34:35], v[vgprValuC+71], v[vgprValuC+71] // check Nan
v_bfe_u32 v6, v[vgprValuC+71], 16, 1               // Non-Nan case: store lsb of bf16
v_add3_u32 v6, v[vgprValuC+71], v6, v9             // Non-Nan case: add lsb and the increment for rounding
v_cndmask_b32 v[vgprValuC+71], v6, v8, s[34:35]    // 
v_and_or_b32 v69, v[vgprValuC+71], v7, v[vgprValuC+70] // pack two bf16 to dword
s_lshl_b32  s34, s[sgprStrideD1J], 1               // incToNextRow: Scale by BPE
s_add_u32  s[sgprSrdD+0], s[sgprSrdD+0], s34       // incToNextRow: gra SRD += inc(lower)
s_addc_u32  s[sgprSrdD+1], s[sgprSrdD+1], 0        // incToNextRow: gra SRD += inc(upper)
_buffer_store_b64 v[68:69], v10, s[sgprSrdD:sgprSrdD+3], 0, offen, offset:0,  sc0 sc1 // store D
v_cmp_u_f32 s[34:35], v[vgprValuC+72], v[vgprValuC+72] // check Nan
v_bfe_u32 v6, v[vgprValuC+72], 16, 1               // Non-Nan case: store lsb of bf16
v_add3_u32 v6, v[vgprValuC+72], v6, v9             // Non-Nan case: add lsb and the increment for rounding
v_cndmask_b32 v[vgprValuC+72], v6, v8, s[34:35]    // 
v_lshrrev_b32 v[vgprValuC+72], 16, v[vgprValuC+72] // convert C to bf16
v_cmp_u_f32 s[34:35], v[vgprValuC+73], v[vgprValuC+73] // check Nan
v_bfe_u32 v6, v[vgprValuC+73], 16, 1               // Non-Nan case: store lsb of bf16
v_add3_u32 v6, v[vgprValuC+73], v6, v9             // Non-Nan case: add lsb and the increment for rounding
v_cndmask_b32 v[vgprValuC+73], v6, v8, s[34:35]    // 
v_and_or_b32 v72, v[vgprValuC+73], v7, v[vgprValuC+72] // pack two bf16 to dword
v_cmp_u_f32 s[34:35], v[vgprValuC+74], v[vgprValuC+74] // check Nan
v_bfe_u32 v6, v[vgprValuC+74], 16, 1               // Non-Nan case: store lsb of bf16
v_add3_u32 v6, v[vgprValuC+74], v6, v9             // Non-Nan case: add lsb and the increment for rounding
v_cndmask_b32 v[vgprValuC+74], v6, v8, s[34:35]    // 
v_lshrrev_b32 v[vgprValuC+74], 16, v[vgprValuC+74] // convert C to bf16
v_cmp_u_f32 s[34:35], v[vgprValuC+75], v[vgprValuC+75] // check Nan
v_bfe_u32 v6, v[vgprValuC+75], 16, 1               // Non-Nan case: store lsb of bf16
v_add3_u32 v6, v[vgprValuC+75], v6, v9             // Non-Nan case: add lsb and the increment for rounding
v_cndmask_b32 v[vgprValuC+75], v6, v8, s[34:35]    // 
v_and_or_b32 v73, v[vgprValuC+75], v7, v[vgprValuC+74] // pack two bf16 to dword
s_lshl_b32  s34, s[sgprStrideD1J], 1               // incToNextRow: Scale by BPE
s_add_u32  s[sgprSrdD+0], s[sgprSrdD+0], s34       // incToNextRow: gra SRD += inc(lower)
s_addc_u32  s[sgprSrdD+1], s[sgprSrdD+1], 0        // incToNextRow: gra SRD += inc(upper)
_buffer_store_b64 v[72:73], v10, s[sgprSrdD:sgprSrdD+3], 0, offen, offset:0,  sc0 sc1 // store D
v_cmp_u_f32 s[34:35], v[vgprValuC+76], v[vgprValuC+76] // check Nan
v_bfe_u32 v6, v[vgprValuC+76], 16, 1               // Non-Nan case: store lsb of bf16
v_add3_u32 v6, v[vgprValuC+76], v6, v9             // Non-Nan case: add lsb and the increment for rounding
v_cndmask_b32 v[vgprValuC+76], v6, v8, s[34:35]    // 
v_lshrrev_b32 v[vgprValuC+76], 16, v[vgprValuC+76] // convert C to bf16
v_cmp_u_f32 s[34:35], v[vgprValuC+77], v[vgprValuC+77] // check Nan
v_bfe_u32 v6, v[vgprValuC+77], 16, 1               // Non-Nan case: store lsb of bf16
v_add3_u32 v6, v[vgprValuC+77], v6, v9             // Non-Nan case: add lsb and the increment for rounding
v_cndmask_b32 v[vgprValuC+77], v6, v8, s[34:35]    // 
v_and_or_b32 v76, v[vgprValuC+77], v7, v[vgprValuC+76] // pack two bf16 to dword
v_cmp_u_f32 s[34:35], v[vgprValuC+78], v[vgprValuC+78] // check Nan
v_bfe_u32 v6, v[vgprValuC+78], 16, 1               // Non-Nan case: store lsb of bf16
v_add3_u32 v6, v[vgprValuC+78], v6, v9             // Non-Nan case: add lsb and the increment for rounding
v_cndmask_b32 v[vgprValuC+78], v6, v8, s[34:35]    // 
v_lshrrev_b32 v[vgprValuC+78], 16, v[vgprValuC+78] // convert C to bf16
v_cmp_u_f32 s[34:35], v[vgprValuC+79], v[vgprValuC+79] // check Nan
v_bfe_u32 v6, v[vgprValuC+79], 16, 1               // Non-Nan case: store lsb of bf16
v_add3_u32 v6, v[vgprValuC+79], v6, v9             // Non-Nan case: add lsb and the increment for rounding
v_cndmask_b32 v[vgprValuC+79], v6, v8, s[34:35]    // 
v_and_or_b32 v77, v[vgprValuC+79], v7, v[vgprValuC+78] // pack two bf16 to dword
s_mul_i32 s34, s[sgprStrideD1J], 50                // scale StrideD *= numRows(25) * bpe
s_add_u32  s[sgprSrdD+0], s[sgprSrdD+0], s34       // incToNextRow: gra SRD += inc(lower)
s_addc_u32  s[sgprSrdD+1], s[sgprSrdD+1], 0        // incToNextRow: gra SRD += inc(upper)
_buffer_store_b64 v[76:77], v10, s[sgprSrdD:sgprSrdD+3], 0, offen, offset:0,  sc0 sc1 // store D
v_cmp_u_f32 s[34:35], v[vgprValuC+80], v[vgprValuC+80] // check Nan
v_bfe_u32 v6, v[vgprValuC+80], 16, 1               // Non-Nan case: store lsb of bf16
v_add3_u32 v6, v[vgprValuC+80], v6, v9             // Non-Nan case: add lsb and the increment for rounding
v_cndmask_b32 v[vgprValuC+80], v6, v8, s[34:35]    // 
v_lshrrev_b32 v[vgprValuC+80], 16, v[vgprValuC+80] // convert C to bf16
v_cmp_u_f32 s[34:35], v[vgprValuC+81], v[vgprValuC+81] // check Nan
v_bfe_u32 v6, v[vgprValuC+81], 16, 1               // Non-Nan case: store lsb of bf16
v_add3_u32 v6, v[vgprValuC+81], v6, v9             // Non-Nan case: add lsb and the increment for rounding
v_cndmask_b32 v[vgprValuC+81], v6, v8, s[34:35]    // 
v_and_or_b32 v80, v[vgprValuC+81], v7, v[vgprValuC+80] // pack two bf16 to dword
v_cmp_u_f32 s[34:35], v[vgprValuC+82], v[vgprValuC+82] // check Nan
v_bfe_u32 v6, v[vgprValuC+82], 16, 1               // Non-Nan case: store lsb of bf16
v_add3_u32 v6, v[vgprValuC+82], v6, v9             // Non-Nan case: add lsb and the increment for rounding
v_cndmask_b32 v[vgprValuC+82], v6, v8, s[34:35]    // 
v_lshrrev_b32 v[vgprValuC+82], 16, v[vgprValuC+82] // convert C to bf16
v_cmp_u_f32 s[34:35], v[vgprValuC+83], v[vgprValuC+83] // check Nan
v_bfe_u32 v6, v[vgprValuC+83], 16, 1               // Non-Nan case: store lsb of bf16
v_add3_u32 v6, v[vgprValuC+83], v6, v9             // Non-Nan case: add lsb and the increment for rounding
v_cndmask_b32 v[vgprValuC+83], v6, v8, s[34:35]    // 
v_and_or_b32 v81, v[vgprValuC+83], v7, v[vgprValuC+82] // pack two bf16 to dword
s_lshl_b32  s34, s[sgprStrideD1J], 1               // incToNextRow: Scale by BPE
s_add_u32  s[sgprSrdD+0], s[sgprSrdD+0], s34       // incToNextRow: gra SRD += inc(lower)
s_addc_u32  s[sgprSrdD+1], s[sgprSrdD+1], 0        // incToNextRow: gra SRD += inc(upper)
_buffer_store_b64 v[80:81], v10, s[sgprSrdD:sgprSrdD+3], 0, offen, offset:0,  sc0 sc1 // store D
v_cmp_u_f32 s[34:35], v[vgprValuC+84], v[vgprValuC+84] // check Nan
v_bfe_u32 v6, v[vgprValuC+84], 16, 1               // Non-Nan case: store lsb of bf16
v_add3_u32 v6, v[vgprValuC+84], v6, v9             // Non-Nan case: add lsb and the increment for rounding
v_cndmask_b32 v[vgprValuC+84], v6, v8, s[34:35]    // 
v_lshrrev_b32 v[vgprValuC+84], 16, v[vgprValuC+84] // convert C to bf16
v_cmp_u_f32 s[34:35], v[vgprValuC+85], v[vgprValuC+85] // check Nan
v_bfe_u32 v6, v[vgprValuC+85], 16, 1               // Non-Nan case: store lsb of bf16
v_add3_u32 v6, v[vgprValuC+85], v6, v9             // Non-Nan case: add lsb and the increment for rounding
v_cndmask_b32 v[vgprValuC+85], v6, v8, s[34:35]    // 
v_and_or_b32 v84, v[vgprValuC+85], v7, v[vgprValuC+84] // pack two bf16 to dword
v_cmp_u_f32 s[34:35], v[vgprValuC+86], v[vgprValuC+86] // check Nan
v_bfe_u32 v6, v[vgprValuC+86], 16, 1               // Non-Nan case: store lsb of bf16
v_add3_u32 v6, v[vgprValuC+86], v6, v9             // Non-Nan case: add lsb and the increment for rounding
v_cndmask_b32 v[vgprValuC+86], v6, v8, s[34:35]    // 
v_lshrrev_b32 v[vgprValuC+86], 16, v[vgprValuC+86] // convert C to bf16
v_cmp_u_f32 s[34:35], v[vgprValuC+87], v[vgprValuC+87] // check Nan
v_bfe_u32 v6, v[vgprValuC+87], 16, 1               // Non-Nan case: store lsb of bf16
v_add3_u32 v6, v[vgprValuC+87], v6, v9             // Non-Nan case: add lsb and the increment for rounding
v_cndmask_b32 v[vgprValuC+87], v6, v8, s[34:35]    // 
v_and_or_b32 v85, v[vgprValuC+87], v7, v[vgprValuC+86] // pack two bf16 to dword
s_lshl_b32  s34, s[sgprStrideD1J], 1               // incToNextRow: Scale by BPE
	;; [unrolled: 24-line block ×5, first 2 shown]
s_add_u32  s[sgprSrdD+0], s[sgprSrdD+0], s34       // incToNextRow: gra SRD += inc(lower)
s_addc_u32  s[sgprSrdD+1], s[sgprSrdD+1], 0        // incToNextRow: gra SRD += inc(upper)
_buffer_store_b64 v[96:97], v10, s[sgprSrdD:sgprSrdD+3], 0, offen, offset:0,  sc0 sc1 // store D
v_cmp_u_f32 s[34:35], v[vgprValuC+100], v[vgprValuC+100] // check Nan
v_bfe_u32 v6, v[vgprValuC+100], 16, 1              // Non-Nan case: store lsb of bf16
v_add3_u32 v6, v[vgprValuC+100], v6, v9            // Non-Nan case: add lsb and the increment for rounding
v_cndmask_b32 v[vgprValuC+100], v6, v8, s[34:35]   // 
v_lshrrev_b32 v[vgprValuC+100], 16, v[vgprValuC+100] // convert C to bf16
v_cmp_u_f32 s[34:35], v[vgprValuC+101], v[vgprValuC+101] // check Nan
v_bfe_u32 v6, v[vgprValuC+101], 16, 1              // Non-Nan case: store lsb of bf16
v_add3_u32 v6, v[vgprValuC+101], v6, v9            // Non-Nan case: add lsb and the increment for rounding
v_cndmask_b32 v[vgprValuC+101], v6, v8, s[34:35]   // 
v_and_or_b32 v100, v[vgprValuC+101], v7, v[vgprValuC+100] // pack two bf16 to dword
v_cmp_u_f32 s[34:35], v[vgprValuC+102], v[vgprValuC+102] // check Nan
v_bfe_u32 v6, v[vgprValuC+102], 16, 1              // Non-Nan case: store lsb of bf16
v_add3_u32 v6, v[vgprValuC+102], v6, v9            // Non-Nan case: add lsb and the increment for rounding
v_cndmask_b32 v[vgprValuC+102], v6, v8, s[34:35]   // 
v_lshrrev_b32 v[vgprValuC+102], 16, v[vgprValuC+102] // convert C to bf16
v_cmp_u_f32 s[34:35], v[vgprValuC+103], v[vgprValuC+103] // check Nan
v_bfe_u32 v6, v[vgprValuC+103], 16, 1              // Non-Nan case: store lsb of bf16
v_add3_u32 v6, v[vgprValuC+103], v6, v9            // Non-Nan case: add lsb and the increment for rounding
v_cndmask_b32 v[vgprValuC+103], v6, v8, s[34:35]   // 
v_and_or_b32 v101, v[vgprValuC+103], v7, v[vgprValuC+102] // pack two bf16 to dword
s_lshl_b32  s34, s[sgprStrideD1J], 1               // incToNextRow: Scale by BPE
s_add_u32  s[sgprSrdD+0], s[sgprSrdD+0], s34       // incToNextRow: gra SRD += inc(lower)
s_addc_u32  s[sgprSrdD+1], s[sgprSrdD+1], 0        // incToNextRow: gra SRD += inc(upper)
_buffer_store_b64 v[100:101], v10, s[sgprSrdD:sgprSrdD+3], 0, offen, offset:0,  sc0 sc1 // store D
v_cmp_u_f32 s[34:35], v[vgprValuC+104], v[vgprValuC+104] // check Nan
v_bfe_u32 v6, v[vgprValuC+104], 16, 1              // Non-Nan case: store lsb of bf16
v_add3_u32 v6, v[vgprValuC+104], v6, v9            // Non-Nan case: add lsb and the increment for rounding
v_cndmask_b32 v[vgprValuC+104], v6, v8, s[34:35]   // 
v_lshrrev_b32 v[vgprValuC+104], 16, v[vgprValuC+104] // convert C to bf16
v_cmp_u_f32 s[34:35], v[vgprValuC+105], v[vgprValuC+105] // check Nan
v_bfe_u32 v6, v[vgprValuC+105], 16, 1              // Non-Nan case: store lsb of bf16
v_add3_u32 v6, v[vgprValuC+105], v6, v9            // Non-Nan case: add lsb and the increment for rounding
v_cndmask_b32 v[vgprValuC+105], v6, v8, s[34:35]   // 
v_and_or_b32 v104, v[vgprValuC+105], v7, v[vgprValuC+104] // pack two bf16 to dword
v_cmp_u_f32 s[34:35], v[vgprValuC+106], v[vgprValuC+106] // check Nan
v_bfe_u32 v6, v[vgprValuC+106], 16, 1              // Non-Nan case: store lsb of bf16
v_add3_u32 v6, v[vgprValuC+106], v6, v9            // Non-Nan case: add lsb and the increment for rounding
v_cndmask_b32 v[vgprValuC+106], v6, v8, s[34:35]   // 
v_lshrrev_b32 v[vgprValuC+106], 16, v[vgprValuC+106] // convert C to bf16
v_cmp_u_f32 s[34:35], v[vgprValuC+107], v[vgprValuC+107] // check Nan
v_bfe_u32 v6, v[vgprValuC+107], 16, 1              // Non-Nan case: store lsb of bf16
v_add3_u32 v6, v[vgprValuC+107], v6, v9            // Non-Nan case: add lsb and the increment for rounding
v_cndmask_b32 v[vgprValuC+107], v6, v8, s[34:35]   // 
v_and_or_b32 v105, v[vgprValuC+107], v7, v[vgprValuC+106] // pack two bf16 to dword
s_lshl_b32  s34, s[sgprStrideD1J], 1               // incToNextRow: Scale by BPE
s_add_u32  s[sgprSrdD+0], s[sgprSrdD+0], s34       // incToNextRow: gra SRD += inc(lower)
s_addc_u32  s[sgprSrdD+1], s[sgprSrdD+1], 0        // incToNextRow: gra SRD += inc(upper)
_buffer_store_b64 v[104:105], v10, s[sgprSrdD:sgprSrdD+3], 0, offen, offset:0,  sc0 sc1 // store D
v_cmp_u_f32 s[34:35], v[vgprValuC+108], v[vgprValuC+108] // check Nan
v_bfe_u32 v6, v[vgprValuC+108], 16, 1              // Non-Nan case: store lsb of bf16
v_add3_u32 v6, v[vgprValuC+108], v6, v9            // Non-Nan case: add lsb and the increment for rounding
v_cndmask_b32 v[vgprValuC+108], v6, v8, s[34:35]   // 
v_lshrrev_b32 v[vgprValuC+108], 16, v[vgprValuC+108] // convert C to bf16
v_cmp_u_f32 s[34:35], v[vgprValuC+109], v[vgprValuC+109] // check Nan
v_bfe_u32 v6, v[vgprValuC+109], 16, 1              // Non-Nan case: store lsb of bf16
v_add3_u32 v6, v[vgprValuC+109], v6, v9            // Non-Nan case: add lsb and the increment for rounding
v_cndmask_b32 v[vgprValuC+109], v6, v8, s[34:35]   // 
v_and_or_b32 v108, v[vgprValuC+109], v7, v[vgprValuC+108] // pack two bf16 to dword
v_cmp_u_f32 s[34:35], v[vgprValuC+110], v[vgprValuC+110] // check Nan
v_bfe_u32 v6, v[vgprValuC+110], 16, 1              // Non-Nan case: store lsb of bf16
v_add3_u32 v6, v[vgprValuC+110], v6, v9            // Non-Nan case: add lsb and the increment for rounding
v_cndmask_b32 v[vgprValuC+110], v6, v8, s[34:35]   // 
v_lshrrev_b32 v[vgprValuC+110], 16, v[vgprValuC+110] // convert C to bf16
v_cmp_u_f32 s[34:35], v[vgprValuC+111], v[vgprValuC+111] // check Nan
v_bfe_u32 v6, v[vgprValuC+111], 16, 1              // Non-Nan case: store lsb of bf16
v_add3_u32 v6, v[vgprValuC+111], v6, v9            // Non-Nan case: add lsb and the increment for rounding
v_cndmask_b32 v[vgprValuC+111], v6, v8, s[34:35]   // 
v_and_or_b32 v109, v[vgprValuC+111], v7, v[vgprValuC+110] // pack two bf16 to dword
s_mul_i32 s34, s[sgprStrideD1J], 50                // scale StrideD *= numRows(25) * bpe
s_add_u32  s[sgprSrdD+0], s[sgprSrdD+0], s34       // incToNextRow: gra SRD += inc(lower)
s_addc_u32  s[sgprSrdD+1], s[sgprSrdD+1], 0        // incToNextRow: gra SRD += inc(upper)
_buffer_store_b64 v[108:109], v10, s[sgprSrdD:sgprSrdD+3], 0, offen, offset:0,  sc0 sc1 // store D
v_cmp_u_f32 s[34:35], v[vgprValuC+112], v[vgprValuC+112] // check Nan
v_bfe_u32 v6, v[vgprValuC+112], 16, 1              // Non-Nan case: store lsb of bf16
v_add3_u32 v6, v[vgprValuC+112], v6, v9            // Non-Nan case: add lsb and the increment for rounding
v_cndmask_b32 v[vgprValuC+112], v6, v8, s[34:35]   // 
v_lshrrev_b32 v[vgprValuC+112], 16, v[vgprValuC+112] // convert C to bf16
v_cmp_u_f32 s[34:35], v[vgprValuC+113], v[vgprValuC+113] // check Nan
v_bfe_u32 v6, v[vgprValuC+113], 16, 1              // Non-Nan case: store lsb of bf16
v_add3_u32 v6, v[vgprValuC+113], v6, v9            // Non-Nan case: add lsb and the increment for rounding
v_cndmask_b32 v[vgprValuC+113], v6, v8, s[34:35]   // 
v_and_or_b32 v112, v[vgprValuC+113], v7, v[vgprValuC+112] // pack two bf16 to dword
v_cmp_u_f32 s[34:35], v[vgprValuC+114], v[vgprValuC+114] // check Nan
v_bfe_u32 v6, v[vgprValuC+114], 16, 1              // Non-Nan case: store lsb of bf16
v_add3_u32 v6, v[vgprValuC+114], v6, v9            // Non-Nan case: add lsb and the increment for rounding
v_cndmask_b32 v[vgprValuC+114], v6, v8, s[34:35]   // 
v_lshrrev_b32 v[vgprValuC+114], 16, v[vgprValuC+114] // convert C to bf16
v_cmp_u_f32 s[34:35], v[vgprValuC+115], v[vgprValuC+115] // check Nan
v_bfe_u32 v6, v[vgprValuC+115], 16, 1              // Non-Nan case: store lsb of bf16
v_add3_u32 v6, v[vgprValuC+115], v6, v9            // Non-Nan case: add lsb and the increment for rounding
v_cndmask_b32 v[vgprValuC+115], v6, v8, s[34:35]   // 
v_and_or_b32 v113, v[vgprValuC+115], v7, v[vgprValuC+114] // pack two bf16 to dword
s_lshl_b32  s34, s[sgprStrideD1J], 1               // incToNextRow: Scale by BPE
s_add_u32  s[sgprSrdD+0], s[sgprSrdD+0], s34       // incToNextRow: gra SRD += inc(lower)
s_addc_u32  s[sgprSrdD+1], s[sgprSrdD+1], 0        // incToNextRow: gra SRD += inc(upper)
_buffer_store_b64 v[112:113], v10, s[sgprSrdD:sgprSrdD+3], 0, offen, offset:0,  sc0 sc1 // store D
v_cmp_u_f32 s[34:35], v[vgprValuC+116], v[vgprValuC+116] // check Nan
v_bfe_u32 v6, v[vgprValuC+116], 16, 1              // Non-Nan case: store lsb of bf16
v_add3_u32 v6, v[vgprValuC+116], v6, v9            // Non-Nan case: add lsb and the increment for rounding
v_cndmask_b32 v[vgprValuC+116], v6, v8, s[34:35]   // 
v_lshrrev_b32 v[vgprValuC+116], 16, v[vgprValuC+116] // convert C to bf16
v_cmp_u_f32 s[34:35], v[vgprValuC+117], v[vgprValuC+117] // check Nan
v_bfe_u32 v6, v[vgprValuC+117], 16, 1              // Non-Nan case: store lsb of bf16
v_add3_u32 v6, v[vgprValuC+117], v6, v9            // Non-Nan case: add lsb and the increment for rounding
v_cndmask_b32 v[vgprValuC+117], v6, v8, s[34:35]   // 
v_and_or_b32 v116, v[vgprValuC+117], v7, v[vgprValuC+116] // pack two bf16 to dword
v_cmp_u_f32 s[34:35], v[vgprValuC+118], v[vgprValuC+118] // check Nan
v_bfe_u32 v6, v[vgprValuC+118], 16, 1              // Non-Nan case: store lsb of bf16
v_add3_u32 v6, v[vgprValuC+118], v6, v9            // Non-Nan case: add lsb and the increment for rounding
v_cndmask_b32 v[vgprValuC+118], v6, v8, s[34:35]   // 
v_lshrrev_b32 v[vgprValuC+118], 16, v[vgprValuC+118] // convert C to bf16
v_cmp_u_f32 s[34:35], v[vgprValuC+119], v[vgprValuC+119] // check Nan
v_bfe_u32 v6, v[vgprValuC+119], 16, 1              // Non-Nan case: store lsb of bf16
v_add3_u32 v6, v[vgprValuC+119], v6, v9            // Non-Nan case: add lsb and the increment for rounding
v_cndmask_b32 v[vgprValuC+119], v6, v8, s[34:35]   // 
v_and_or_b32 v117, v[vgprValuC+119], v7, v[vgprValuC+118] // pack two bf16 to dword
s_lshl_b32  s34, s[sgprStrideD1J], 1               // incToNextRow: Scale by BPE
	;; [unrolled: 24-line block ×7, first 2 shown]
s_add_u32  s[sgprSrdD+0], s[sgprSrdD+0], s34       // incToNextRow: gra SRD += inc(lower)
s_addc_u32  s[sgprSrdD+1], s[sgprSrdD+1], 0        // incToNextRow: gra SRD += inc(upper)
_buffer_store_b64 v[136:137], v10, s[sgprSrdD:sgprSrdD+3], 0, offen, offset:0,  sc0 sc1 // store D
v_cmp_u_f32 s[34:35], v[vgprValuC+140], v[vgprValuC+140] // check Nan
v_bfe_u32 v6, v[vgprValuC+140], 16, 1              // Non-Nan case: store lsb of bf16
v_add3_u32 v6, v[vgprValuC+140], v6, v9            // Non-Nan case: add lsb and the increment for rounding
v_cndmask_b32 v[vgprValuC+140], v6, v8, s[34:35]   // 
v_lshrrev_b32 v[vgprValuC+140], 16, v[vgprValuC+140] // convert C to bf16
v_cmp_u_f32 s[34:35], v[vgprValuC+141], v[vgprValuC+141] // check Nan
v_bfe_u32 v6, v[vgprValuC+141], 16, 1              // Non-Nan case: store lsb of bf16
v_add3_u32 v6, v[vgprValuC+141], v6, v9            // Non-Nan case: add lsb and the increment for rounding
v_cndmask_b32 v[vgprValuC+141], v6, v8, s[34:35]   // 
v_and_or_b32 v140, v[vgprValuC+141], v7, v[vgprValuC+140] // pack two bf16 to dword
v_cmp_u_f32 s[34:35], v[vgprValuC+142], v[vgprValuC+142] // check Nan
v_bfe_u32 v6, v[vgprValuC+142], 16, 1              // Non-Nan case: store lsb of bf16
v_add3_u32 v6, v[vgprValuC+142], v6, v9            // Non-Nan case: add lsb and the increment for rounding
v_cndmask_b32 v[vgprValuC+142], v6, v8, s[34:35]   // 
v_lshrrev_b32 v[vgprValuC+142], 16, v[vgprValuC+142] // convert C to bf16
v_cmp_u_f32 s[34:35], v[vgprValuC+143], v[vgprValuC+143] // check Nan
v_bfe_u32 v6, v[vgprValuC+143], 16, 1              // Non-Nan case: store lsb of bf16
v_add3_u32 v6, v[vgprValuC+143], v6, v9            // Non-Nan case: add lsb and the increment for rounding
v_cndmask_b32 v[vgprValuC+143], v6, v8, s[34:35]   // 
v_and_or_b32 v141, v[vgprValuC+143], v7, v[vgprValuC+142] // pack two bf16 to dword
s_mul_i32 s34, s[sgprStrideD1J], 50                // scale StrideD *= numRows(25) * bpe
s_add_u32  s[sgprSrdD+0], s[sgprSrdD+0], s34       // incToNextRow: gra SRD += inc(lower)
s_addc_u32  s[sgprSrdD+1], s[sgprSrdD+1], 0        // incToNextRow: gra SRD += inc(upper)
_buffer_store_b64 v[140:141], v10, s[sgprSrdD:sgprSrdD+3], 0, offen, offset:0,  sc0 sc1 // store D
v_cmp_u_f32 s[34:35], v[vgprValuC+144], v[vgprValuC+144] // check Nan
v_bfe_u32 v6, v[vgprValuC+144], 16, 1              // Non-Nan case: store lsb of bf16
v_add3_u32 v6, v[vgprValuC+144], v6, v9            // Non-Nan case: add lsb and the increment for rounding
v_cndmask_b32 v[vgprValuC+144], v6, v8, s[34:35]   // 
v_lshrrev_b32 v[vgprValuC+144], 16, v[vgprValuC+144] // convert C to bf16
v_cmp_u_f32 s[34:35], v[vgprValuC+145], v[vgprValuC+145] // check Nan
v_bfe_u32 v6, v[vgprValuC+145], 16, 1              // Non-Nan case: store lsb of bf16
v_add3_u32 v6, v[vgprValuC+145], v6, v9            // Non-Nan case: add lsb and the increment for rounding
v_cndmask_b32 v[vgprValuC+145], v6, v8, s[34:35]   // 
v_and_or_b32 v144, v[vgprValuC+145], v7, v[vgprValuC+144] // pack two bf16 to dword
v_cmp_u_f32 s[34:35], v[vgprValuC+146], v[vgprValuC+146] // check Nan
v_bfe_u32 v6, v[vgprValuC+146], 16, 1              // Non-Nan case: store lsb of bf16
v_add3_u32 v6, v[vgprValuC+146], v6, v9            // Non-Nan case: add lsb and the increment for rounding
v_cndmask_b32 v[vgprValuC+146], v6, v8, s[34:35]   // 
v_lshrrev_b32 v[vgprValuC+146], 16, v[vgprValuC+146] // convert C to bf16
v_cmp_u_f32 s[34:35], v[vgprValuC+147], v[vgprValuC+147] // check Nan
v_bfe_u32 v6, v[vgprValuC+147], 16, 1              // Non-Nan case: store lsb of bf16
v_add3_u32 v6, v[vgprValuC+147], v6, v9            // Non-Nan case: add lsb and the increment for rounding
v_cndmask_b32 v[vgprValuC+147], v6, v8, s[34:35]   // 
v_and_or_b32 v145, v[vgprValuC+147], v7, v[vgprValuC+146] // pack two bf16 to dword
s_lshl_b32  s34, s[sgprStrideD1J], 1               // incToNextRow: Scale by BPE
s_add_u32  s[sgprSrdD+0], s[sgprSrdD+0], s34       // incToNextRow: gra SRD += inc(lower)
s_addc_u32  s[sgprSrdD+1], s[sgprSrdD+1], 0        // incToNextRow: gra SRD += inc(upper)
_buffer_store_b64 v[144:145], v10, s[sgprSrdD:sgprSrdD+3], 0, offen, offset:0,  sc0 sc1 // store D
v_cmp_u_f32 s[34:35], v[vgprValuC+148], v[vgprValuC+148] // check Nan
v_bfe_u32 v6, v[vgprValuC+148], 16, 1              // Non-Nan case: store lsb of bf16
v_add3_u32 v6, v[vgprValuC+148], v6, v9            // Non-Nan case: add lsb and the increment for rounding
v_cndmask_b32 v[vgprValuC+148], v6, v8, s[34:35]   // 
v_lshrrev_b32 v[vgprValuC+148], 16, v[vgprValuC+148] // convert C to bf16
v_cmp_u_f32 s[34:35], v[vgprValuC+149], v[vgprValuC+149] // check Nan
v_bfe_u32 v6, v[vgprValuC+149], 16, 1              // Non-Nan case: store lsb of bf16
v_add3_u32 v6, v[vgprValuC+149], v6, v9            // Non-Nan case: add lsb and the increment for rounding
v_cndmask_b32 v[vgprValuC+149], v6, v8, s[34:35]   // 
v_and_or_b32 v148, v[vgprValuC+149], v7, v[vgprValuC+148] // pack two bf16 to dword
v_cmp_u_f32 s[34:35], v[vgprValuC+150], v[vgprValuC+150] // check Nan
v_bfe_u32 v6, v[vgprValuC+150], 16, 1              // Non-Nan case: store lsb of bf16
v_add3_u32 v6, v[vgprValuC+150], v6, v9            // Non-Nan case: add lsb and the increment for rounding
v_cndmask_b32 v[vgprValuC+150], v6, v8, s[34:35]   // 
v_lshrrev_b32 v[vgprValuC+150], 16, v[vgprValuC+150] // convert C to bf16
v_cmp_u_f32 s[34:35], v[vgprValuC+151], v[vgprValuC+151] // check Nan
v_bfe_u32 v6, v[vgprValuC+151], 16, 1              // Non-Nan case: store lsb of bf16
v_add3_u32 v6, v[vgprValuC+151], v6, v9            // Non-Nan case: add lsb and the increment for rounding
v_cndmask_b32 v[vgprValuC+151], v6, v8, s[34:35]   // 
v_and_or_b32 v149, v[vgprValuC+151], v7, v[vgprValuC+150] // pack two bf16 to dword
s_lshl_b32  s34, s[sgprStrideD1J], 1               // incToNextRow: Scale by BPE
	;; [unrolled: 24-line block ×7, first 2 shown]
s_add_u32  s[sgprSrdD+0], s[sgprSrdD+0], s34       // incToNextRow: gra SRD += inc(lower)
s_addc_u32  s[sgprSrdD+1], s[sgprSrdD+1], 0        // incToNextRow: gra SRD += inc(upper)
_buffer_store_b64 v[168:169], v10, s[sgprSrdD:sgprSrdD+3], 0, offen, offset:0,  sc0 sc1 // store D
v_cmp_u_f32 s[34:35], v[vgprValuC+172], v[vgprValuC+172] // check Nan
v_bfe_u32 v6, v[vgprValuC+172], 16, 1              // Non-Nan case: store lsb of bf16
v_add3_u32 v6, v[vgprValuC+172], v6, v9            // Non-Nan case: add lsb and the increment for rounding
v_cndmask_b32 v[vgprValuC+172], v6, v8, s[34:35]   // 
v_lshrrev_b32 v[vgprValuC+172], 16, v[vgprValuC+172] // convert C to bf16
v_cmp_u_f32 s[34:35], v[vgprValuC+173], v[vgprValuC+173] // check Nan
v_bfe_u32 v6, v[vgprValuC+173], 16, 1              // Non-Nan case: store lsb of bf16
v_add3_u32 v6, v[vgprValuC+173], v6, v9            // Non-Nan case: add lsb and the increment for rounding
v_cndmask_b32 v[vgprValuC+173], v6, v8, s[34:35]   // 
v_and_or_b32 v172, v[vgprValuC+173], v7, v[vgprValuC+172] // pack two bf16 to dword
v_cmp_u_f32 s[34:35], v[vgprValuC+174], v[vgprValuC+174] // check Nan
v_bfe_u32 v6, v[vgprValuC+174], 16, 1              // Non-Nan case: store lsb of bf16
v_add3_u32 v6, v[vgprValuC+174], v6, v9            // Non-Nan case: add lsb and the increment for rounding
v_cndmask_b32 v[vgprValuC+174], v6, v8, s[34:35]   // 
v_lshrrev_b32 v[vgprValuC+174], 16, v[vgprValuC+174] // convert C to bf16
v_cmp_u_f32 s[34:35], v[vgprValuC+175], v[vgprValuC+175] // check Nan
v_bfe_u32 v6, v[vgprValuC+175], 16, 1              // Non-Nan case: store lsb of bf16
v_add3_u32 v6, v[vgprValuC+175], v6, v9            // Non-Nan case: add lsb and the increment for rounding
v_cndmask_b32 v[vgprValuC+175], v6, v8, s[34:35]   // 
v_and_or_b32 v173, v[vgprValuC+175], v7, v[vgprValuC+174] // pack two bf16 to dword
s_mul_i32 s34, s[sgprStrideD1J], 50                // scale StrideD *= numRows(25) * bpe
s_add_u32  s[sgprSrdD+0], s[sgprSrdD+0], s34       // incToNextRow: gra SRD += inc(lower)
s_addc_u32  s[sgprSrdD+1], s[sgprSrdD+1], 0        // incToNextRow: gra SRD += inc(upper)
_buffer_store_b64 v[172:173], v10, s[sgprSrdD:sgprSrdD+3], 0, offen, offset:0,  sc0 sc1 // store D
v_cmp_u_f32 s[34:35], v[vgprValuC+176], v[vgprValuC+176] // check Nan
v_bfe_u32 v6, v[vgprValuC+176], 16, 1              // Non-Nan case: store lsb of bf16
v_add3_u32 v6, v[vgprValuC+176], v6, v9            // Non-Nan case: add lsb and the increment for rounding
v_cndmask_b32 v[vgprValuC+176], v6, v8, s[34:35]   // 
v_lshrrev_b32 v[vgprValuC+176], 16, v[vgprValuC+176] // convert C to bf16
v_cmp_u_f32 s[34:35], v[vgprValuC+177], v[vgprValuC+177] // check Nan
v_bfe_u32 v6, v[vgprValuC+177], 16, 1              // Non-Nan case: store lsb of bf16
v_add3_u32 v6, v[vgprValuC+177], v6, v9            // Non-Nan case: add lsb and the increment for rounding
v_cndmask_b32 v[vgprValuC+177], v6, v8, s[34:35]   // 
v_and_or_b32 v176, v[vgprValuC+177], v7, v[vgprValuC+176] // pack two bf16 to dword
v_cmp_u_f32 s[34:35], v[vgprValuC+178], v[vgprValuC+178] // check Nan
v_bfe_u32 v6, v[vgprValuC+178], 16, 1              // Non-Nan case: store lsb of bf16
v_add3_u32 v6, v[vgprValuC+178], v6, v9            // Non-Nan case: add lsb and the increment for rounding
v_cndmask_b32 v[vgprValuC+178], v6, v8, s[34:35]   // 
v_lshrrev_b32 v[vgprValuC+178], 16, v[vgprValuC+178] // convert C to bf16
v_cmp_u_f32 s[34:35], v[vgprValuC+179], v[vgprValuC+179] // check Nan
v_bfe_u32 v6, v[vgprValuC+179], 16, 1              // Non-Nan case: store lsb of bf16
v_add3_u32 v6, v[vgprValuC+179], v6, v9            // Non-Nan case: add lsb and the increment for rounding
v_cndmask_b32 v[vgprValuC+179], v6, v8, s[34:35]   // 
v_and_or_b32 v177, v[vgprValuC+179], v7, v[vgprValuC+178] // pack two bf16 to dword
s_lshl_b32  s34, s[sgprStrideD1J], 1               // incToNextRow: Scale by BPE
s_add_u32  s[sgprSrdD+0], s[sgprSrdD+0], s34       // incToNextRow: gra SRD += inc(lower)
s_addc_u32  s[sgprSrdD+1], s[sgprSrdD+1], 0        // incToNextRow: gra SRD += inc(upper)
_buffer_store_b64 v[176:177], v10, s[sgprSrdD:sgprSrdD+3], 0, offen, offset:0,  sc0 sc1 // store D
v_cmp_u_f32 s[34:35], v[vgprValuC+180], v[vgprValuC+180] // check Nan
v_bfe_u32 v6, v[vgprValuC+180], 16, 1              // Non-Nan case: store lsb of bf16
v_add3_u32 v6, v[vgprValuC+180], v6, v9            // Non-Nan case: add lsb and the increment for rounding
v_cndmask_b32 v[vgprValuC+180], v6, v8, s[34:35]   // 
v_lshrrev_b32 v[vgprValuC+180], 16, v[vgprValuC+180] // convert C to bf16
v_cmp_u_f32 s[34:35], v[vgprValuC+181], v[vgprValuC+181] // check Nan
v_bfe_u32 v6, v[vgprValuC+181], 16, 1              // Non-Nan case: store lsb of bf16
v_add3_u32 v6, v[vgprValuC+181], v6, v9            // Non-Nan case: add lsb and the increment for rounding
v_cndmask_b32 v[vgprValuC+181], v6, v8, s[34:35]   // 
v_and_or_b32 v180, v[vgprValuC+181], v7, v[vgprValuC+180] // pack two bf16 to dword
v_cmp_u_f32 s[34:35], v[vgprValuC+182], v[vgprValuC+182] // check Nan
v_bfe_u32 v6, v[vgprValuC+182], 16, 1              // Non-Nan case: store lsb of bf16
v_add3_u32 v6, v[vgprValuC+182], v6, v9            // Non-Nan case: add lsb and the increment for rounding
v_cndmask_b32 v[vgprValuC+182], v6, v8, s[34:35]   // 
v_lshrrev_b32 v[vgprValuC+182], 16, v[vgprValuC+182] // convert C to bf16
v_cmp_u_f32 s[34:35], v[vgprValuC+183], v[vgprValuC+183] // check Nan
v_bfe_u32 v6, v[vgprValuC+183], 16, 1              // Non-Nan case: store lsb of bf16
v_add3_u32 v6, v[vgprValuC+183], v6, v9            // Non-Nan case: add lsb and the increment for rounding
v_cndmask_b32 v[vgprValuC+183], v6, v8, s[34:35]   // 
v_and_or_b32 v181, v[vgprValuC+183], v7, v[vgprValuC+182] // pack two bf16 to dword
s_lshl_b32  s34, s[sgprStrideD1J], 1               // incToNextRow: Scale by BPE
	;; [unrolled: 24-line block ×7, first 2 shown]
s_add_u32  s[sgprSrdD+0], s[sgprSrdD+0], s34       // incToNextRow: gra SRD += inc(lower)
s_addc_u32  s[sgprSrdD+1], s[sgprSrdD+1], 0        // incToNextRow: gra SRD += inc(upper)
_buffer_store_b64 v[200:201], v10, s[sgprSrdD:sgprSrdD+3], 0, offen, offset:0,  sc0 sc1 // store D
v_cmp_u_f32 s[34:35], v[vgprValuC+204], v[vgprValuC+204] // check Nan
v_bfe_u32 v6, v[vgprValuC+204], 16, 1              // Non-Nan case: store lsb of bf16
v_add3_u32 v6, v[vgprValuC+204], v6, v9            // Non-Nan case: add lsb and the increment for rounding
v_cndmask_b32 v[vgprValuC+204], v6, v8, s[34:35]   // 
v_lshrrev_b32 v[vgprValuC+204], 16, v[vgprValuC+204] // convert C to bf16
v_cmp_u_f32 s[34:35], v[vgprValuC+205], v[vgprValuC+205] // check Nan
v_bfe_u32 v6, v[vgprValuC+205], 16, 1              // Non-Nan case: store lsb of bf16
v_add3_u32 v6, v[vgprValuC+205], v6, v9            // Non-Nan case: add lsb and the increment for rounding
v_cndmask_b32 v[vgprValuC+205], v6, v8, s[34:35]   // 
v_and_or_b32 v204, v[vgprValuC+205], v7, v[vgprValuC+204] // pack two bf16 to dword
v_cmp_u_f32 s[34:35], v[vgprValuC+206], v[vgprValuC+206] // check Nan
v_bfe_u32 v6, v[vgprValuC+206], 16, 1              // Non-Nan case: store lsb of bf16
v_add3_u32 v6, v[vgprValuC+206], v6, v9            // Non-Nan case: add lsb and the increment for rounding
v_cndmask_b32 v[vgprValuC+206], v6, v8, s[34:35]   // 
v_lshrrev_b32 v[vgprValuC+206], 16, v[vgprValuC+206] // convert C to bf16
v_cmp_u_f32 s[34:35], v[vgprValuC+207], v[vgprValuC+207] // check Nan
v_bfe_u32 v6, v[vgprValuC+207], 16, 1              // Non-Nan case: store lsb of bf16
v_add3_u32 v6, v[vgprValuC+207], v6, v9            // Non-Nan case: add lsb and the increment for rounding
v_cndmask_b32 v[vgprValuC+207], v6, v8, s[34:35]   // 
v_and_or_b32 v205, v[vgprValuC+207], v7, v[vgprValuC+206] // pack two bf16 to dword
s_mul_i32 s34, s[sgprStrideD1J], 50                // scale StrideD *= numRows(25) * bpe
s_add_u32  s[sgprSrdD+0], s[sgprSrdD+0], s34       // incToNextRow: gra SRD += inc(lower)
s_addc_u32  s[sgprSrdD+1], s[sgprSrdD+1], 0        // incToNextRow: gra SRD += inc(upper)
_buffer_store_b64 v[204:205], v10, s[sgprSrdD:sgprSrdD+3], 0, offen, offset:0,  sc0 sc1 // store D
v_cmp_u_f32 s[34:35], v[vgprValuC+208], v[vgprValuC+208] // check Nan
v_bfe_u32 v6, v[vgprValuC+208], 16, 1              // Non-Nan case: store lsb of bf16
v_add3_u32 v6, v[vgprValuC+208], v6, v9            // Non-Nan case: add lsb and the increment for rounding
v_cndmask_b32 v[vgprValuC+208], v6, v8, s[34:35]   // 
v_lshrrev_b32 v[vgprValuC+208], 16, v[vgprValuC+208] // convert C to bf16
v_cmp_u_f32 s[34:35], v[vgprValuC+209], v[vgprValuC+209] // check Nan
v_bfe_u32 v6, v[vgprValuC+209], 16, 1              // Non-Nan case: store lsb of bf16
v_add3_u32 v6, v[vgprValuC+209], v6, v9            // Non-Nan case: add lsb and the increment for rounding
v_cndmask_b32 v[vgprValuC+209], v6, v8, s[34:35]   // 
v_and_or_b32 v208, v[vgprValuC+209], v7, v[vgprValuC+208] // pack two bf16 to dword
v_cmp_u_f32 s[34:35], v[vgprValuC+210], v[vgprValuC+210] // check Nan
v_bfe_u32 v6, v[vgprValuC+210], 16, 1              // Non-Nan case: store lsb of bf16
v_add3_u32 v6, v[vgprValuC+210], v6, v9            // Non-Nan case: add lsb and the increment for rounding
v_cndmask_b32 v[vgprValuC+210], v6, v8, s[34:35]   // 
v_lshrrev_b32 v[vgprValuC+210], 16, v[vgprValuC+210] // convert C to bf16
v_cmp_u_f32 s[34:35], v[vgprValuC+211], v[vgprValuC+211] // check Nan
v_bfe_u32 v6, v[vgprValuC+211], 16, 1              // Non-Nan case: store lsb of bf16
v_add3_u32 v6, v[vgprValuC+211], v6, v9            // Non-Nan case: add lsb and the increment for rounding
v_cndmask_b32 v[vgprValuC+211], v6, v8, s[34:35]   // 
v_and_or_b32 v209, v[vgprValuC+211], v7, v[vgprValuC+210] // pack two bf16 to dword
s_lshl_b32  s34, s[sgprStrideD1J], 1               // incToNextRow: Scale by BPE
s_add_u32  s[sgprSrdD+0], s[sgprSrdD+0], s34       // incToNextRow: gra SRD += inc(lower)
s_addc_u32  s[sgprSrdD+1], s[sgprSrdD+1], 0        // incToNextRow: gra SRD += inc(upper)
_buffer_store_b64 v[208:209], v10, s[sgprSrdD:sgprSrdD+3], 0, offen, offset:0,  sc0 sc1 // store D
v_cmp_u_f32 s[34:35], v[vgprValuC+212], v[vgprValuC+212] // check Nan
v_bfe_u32 v6, v[vgprValuC+212], 16, 1              // Non-Nan case: store lsb of bf16
v_add3_u32 v6, v[vgprValuC+212], v6, v9            // Non-Nan case: add lsb and the increment for rounding
v_cndmask_b32 v[vgprValuC+212], v6, v8, s[34:35]   // 
v_lshrrev_b32 v[vgprValuC+212], 16, v[vgprValuC+212] // convert C to bf16
v_cmp_u_f32 s[34:35], v[vgprValuC+213], v[vgprValuC+213] // check Nan
v_bfe_u32 v6, v[vgprValuC+213], 16, 1              // Non-Nan case: store lsb of bf16
v_add3_u32 v6, v[vgprValuC+213], v6, v9            // Non-Nan case: add lsb and the increment for rounding
v_cndmask_b32 v[vgprValuC+213], v6, v8, s[34:35]   // 
v_and_or_b32 v212, v[vgprValuC+213], v7, v[vgprValuC+212] // pack two bf16 to dword
v_cmp_u_f32 s[34:35], v[vgprValuC+214], v[vgprValuC+214] // check Nan
v_bfe_u32 v6, v[vgprValuC+214], 16, 1              // Non-Nan case: store lsb of bf16
v_add3_u32 v6, v[vgprValuC+214], v6, v9            // Non-Nan case: add lsb and the increment for rounding
v_cndmask_b32 v[vgprValuC+214], v6, v8, s[34:35]   // 
v_lshrrev_b32 v[vgprValuC+214], 16, v[vgprValuC+214] // convert C to bf16
v_cmp_u_f32 s[34:35], v[vgprValuC+215], v[vgprValuC+215] // check Nan
v_bfe_u32 v6, v[vgprValuC+215], 16, 1              // Non-Nan case: store lsb of bf16
v_add3_u32 v6, v[vgprValuC+215], v6, v9            // Non-Nan case: add lsb and the increment for rounding
v_cndmask_b32 v[vgprValuC+215], v6, v8, s[34:35]   // 
v_and_or_b32 v213, v[vgprValuC+215], v7, v[vgprValuC+214] // pack two bf16 to dword
s_lshl_b32  s34, s[sgprStrideD1J], 1               // incToNextRow: Scale by BPE
	;; [unrolled: 24-line block ×7, first 2 shown]
s_add_u32  s[sgprSrdD+0], s[sgprSrdD+0], s34       // incToNextRow: gra SRD += inc(lower)
s_addc_u32  s[sgprSrdD+1], s[sgprSrdD+1], 0        // incToNextRow: gra SRD += inc(upper)
_buffer_store_b64 v[236:237], v10, s[sgprSrdD:sgprSrdD+3], 0, offen, offset:0,  sc0 sc1 // store D
v_cmp_u_f32 s[34:35], v[vgprValuC+240], v[vgprValuC+240] // check Nan
v_bfe_u32 v6, v[vgprValuC+240], 16, 1              // Non-Nan case: store lsb of bf16
v_add3_u32 v6, v[vgprValuC+240], v6, v9            // Non-Nan case: add lsb and the increment for rounding
v_cndmask_b32 v[vgprValuC+240], v6, v8, s[34:35]   // 
v_lshrrev_b32 v[vgprValuC+240], 16, v[vgprValuC+240] // convert C to bf16
v_cmp_u_f32 s[34:35], v[vgprValuC+241], v[vgprValuC+241] // check Nan
v_bfe_u32 v6, v[vgprValuC+241], 16, 1              // Non-Nan case: store lsb of bf16
v_add3_u32 v6, v[vgprValuC+241], v6, v9            // Non-Nan case: add lsb and the increment for rounding
v_cndmask_b32 v[vgprValuC+241], v6, v8, s[34:35]   // 
v_and_or_b32 v240, v[vgprValuC+241], v7, v[vgprValuC+240] // pack two bf16 to dword
v_cmp_u_f32 s[34:35], v[vgprValuC+242], v[vgprValuC+242] // check Nan
v_bfe_u32 v6, v[vgprValuC+242], 16, 1              // Non-Nan case: store lsb of bf16
v_add3_u32 v6, v[vgprValuC+242], v6, v9            // Non-Nan case: add lsb and the increment for rounding
v_cndmask_b32 v[vgprValuC+242], v6, v8, s[34:35]   // 
v_lshrrev_b32 v[vgprValuC+242], 16, v[vgprValuC+242] // convert C to bf16
v_cmp_u_f32 s[34:35], v[vgprValuC+243], v[vgprValuC+243] // check Nan
v_bfe_u32 v6, v[vgprValuC+243], 16, 1              // Non-Nan case: store lsb of bf16
v_add3_u32 v6, v[vgprValuC+243], v6, v9            // Non-Nan case: add lsb and the increment for rounding
v_cndmask_b32 v[vgprValuC+243], v6, v8, s[34:35]   // 
v_and_or_b32 v241, v[vgprValuC+243], v7, v[vgprValuC+242] // pack two bf16 to dword
s_mul_i32 s34, s[sgprStrideD1J], 50                // scale StrideD *= numRows(25) * bpe
s_add_u32  s[sgprSrdD+0], s[sgprSrdD+0], s34       // incToNextRow: gra SRD += inc(lower)
s_addc_u32  s[sgprSrdD+1], s[sgprSrdD+1], 0        // incToNextRow: gra SRD += inc(upper)
_buffer_store_b64 v[240:241], v10, s[sgprSrdD:sgprSrdD+3], 0, offen, offset:0,  sc0 sc1 // store D
v_cmp_u_f32 s[34:35], v[vgprValuC+244], v[vgprValuC+244] // check Nan
v_bfe_u32 v6, v[vgprValuC+244], 16, 1              // Non-Nan case: store lsb of bf16
v_add3_u32 v6, v[vgprValuC+244], v6, v9            // Non-Nan case: add lsb and the increment for rounding
v_cndmask_b32 v[vgprValuC+244], v6, v8, s[34:35]   // 
v_lshrrev_b32 v[vgprValuC+244], 16, v[vgprValuC+244] // convert C to bf16
v_cmp_u_f32 s[34:35], v[vgprValuC+245], v[vgprValuC+245] // check Nan
v_bfe_u32 v6, v[vgprValuC+245], 16, 1              // Non-Nan case: store lsb of bf16
v_add3_u32 v6, v[vgprValuC+245], v6, v9            // Non-Nan case: add lsb and the increment for rounding
v_cndmask_b32 v[vgprValuC+245], v6, v8, s[34:35]   // 
v_and_or_b32 v244, v[vgprValuC+245], v7, v[vgprValuC+244] // pack two bf16 to dword
v_cmp_u_f32 s[34:35], v[vgprValuC+246], v[vgprValuC+246] // check Nan
v_bfe_u32 v6, v[vgprValuC+246], 16, 1              // Non-Nan case: store lsb of bf16
v_add3_u32 v6, v[vgprValuC+246], v6, v9            // Non-Nan case: add lsb and the increment for rounding
v_cndmask_b32 v[vgprValuC+246], v6, v8, s[34:35]   // 
v_lshrrev_b32 v[vgprValuC+246], 16, v[vgprValuC+246] // convert C to bf16
v_cmp_u_f32 s[34:35], v[vgprValuC+247], v[vgprValuC+247] // check Nan
v_bfe_u32 v6, v[vgprValuC+247], 16, 1              // Non-Nan case: store lsb of bf16
v_add3_u32 v6, v[vgprValuC+247], v6, v9            // Non-Nan case: add lsb and the increment for rounding
v_cndmask_b32 v[vgprValuC+247], v6, v8, s[34:35]   // 
v_and_or_b32 v245, v[vgprValuC+247], v7, v[vgprValuC+246] // pack two bf16 to dword
s_lshl_b32  s34, s[sgprStrideD1J], 1               // incToNextRow: Scale by BPE
s_add_u32  s[sgprSrdD+0], s[sgprSrdD+0], s34       // incToNextRow: gra SRD += inc(lower)
s_addc_u32  s[sgprSrdD+1], s[sgprSrdD+1], 0        // incToNextRow: gra SRD += inc(upper)
_buffer_store_b64 v[244:245], v10, s[sgprSrdD:sgprSrdD+3], 0, offen, offset:0,  sc0 sc1 // store D
v_cmp_u_f32 s[34:35], v[vgprValuC+248], v[vgprValuC+248] // check Nan
v_bfe_u32 v6, v[vgprValuC+248], 16, 1              // Non-Nan case: store lsb of bf16
v_add3_u32 v6, v[vgprValuC+248], v6, v9            // Non-Nan case: add lsb and the increment for rounding
v_cndmask_b32 v[vgprValuC+248], v6, v8, s[34:35]   // 
v_lshrrev_b32 v[vgprValuC+248], 16, v[vgprValuC+248] // convert C to bf16
v_cmp_u_f32 s[34:35], v[vgprValuC+249], v[vgprValuC+249] // check Nan
v_bfe_u32 v6, v[vgprValuC+249], 16, 1              // Non-Nan case: store lsb of bf16
v_add3_u32 v6, v[vgprValuC+249], v6, v9            // Non-Nan case: add lsb and the increment for rounding
v_cndmask_b32 v[vgprValuC+249], v6, v8, s[34:35]   // 
v_and_or_b32 v248, v[vgprValuC+249], v7, v[vgprValuC+248] // pack two bf16 to dword
v_cmp_u_f32 s[34:35], v[vgprValuC+250], v[vgprValuC+250] // check Nan
v_bfe_u32 v6, v[vgprValuC+250], 16, 1              // Non-Nan case: store lsb of bf16
v_add3_u32 v6, v[vgprValuC+250], v6, v9            // Non-Nan case: add lsb and the increment for rounding
v_cndmask_b32 v[vgprValuC+250], v6, v8, s[34:35]   // 
v_lshrrev_b32 v[vgprValuC+250], 16, v[vgprValuC+250] // convert C to bf16
v_cmp_u_f32 s[34:35], v[vgprValuC+251], v[vgprValuC+251] // check Nan
v_bfe_u32 v6, v[vgprValuC+251], 16, 1              // Non-Nan case: store lsb of bf16
v_add3_u32 v6, v[vgprValuC+251], v6, v9            // Non-Nan case: add lsb and the increment for rounding
v_cndmask_b32 v[vgprValuC+251], v6, v8, s[34:35]   // 
v_and_or_b32 v249, v[vgprValuC+251], v7, v[vgprValuC+250] // pack two bf16 to dword
s_lshl_b32  s34, s[sgprStrideD1J], 1               // incToNextRow: Scale by BPE
	;; [unrolled: 24-line block ×3, first 2 shown]
s_add_u32  s[sgprSrdD+0], s[sgprSrdD+0], s34       // incToNextRow: gra SRD += inc(lower)
s_addc_u32  s[sgprSrdD+1], s[sgprSrdD+1], 0        // incToNextRow: gra SRD += inc(upper)
_buffer_store_b64 v[252:253], v10, s[sgprSrdD:sgprSrdD+3], 0, offen, offset:0,  sc0 sc1 // store D
s_nop 0                                            // 1 wait state required when next inst writes vgprs held by previous dwordx4 store inst
/* optSingleColVgpr=1 optSharedColVgpr=0 optSGPRUsage=BufferLoad_Mask optSrdIncForRow=1 */

/******************************************/
/* Global Write Batch #1 (d1,d0,vc1,vc0) = */
/*    (7,0,4,0:vw4); (7,0,5,0:vw4); (7,0,6,0:vw4); (7,0,7,0:vw4) */
/******************************************/

/* calc coords, apply mask, and issue loads (if necessary) */
/* (d1,vc1,d0,vc0)=(7,4,0,0) */
/* (d1,vc1,d0,vc0)=(7,5,0,0) */
	;; [unrolled: 1-line block ×4, first 2 shown]
v_accvgpr_read_b32 v[vgprValuC+12], acc226 // copy acc to vreg[240]
v_accvgpr_read_b32 v[vgprValuC+13], acc230 // copy acc to vreg[241]
v_accvgpr_read_b32 v[vgprValuC+14], acc234 // copy acc to vreg[242]
v_accvgpr_read_b32 v[vgprValuC+15], acc238 // copy acc to vreg[243]
v_accvgpr_read_b32 v[vgprValuC+16], acc242 // copy acc to vreg[244]
v_accvgpr_read_b32 v[vgprValuC+17], acc246 // copy acc to vreg[245]
v_accvgpr_read_b32 v[vgprValuC+18], acc250 // copy acc to vreg[246]
v_accvgpr_read_b32 v[vgprValuC+19], acc254 // copy acc to vreg[247]
v_accvgpr_read_b32 v[vgprValuC+20], acc227 // copy acc to vreg[248]
v_accvgpr_read_b32 v[vgprValuC+21], acc231 // copy acc to vreg[249]
v_accvgpr_read_b32 v[vgprValuC+22], acc235 // copy acc to vreg[250]
v_accvgpr_read_b32 v[vgprValuC+23], acc239 // copy acc to vreg[251]
v_accvgpr_read_b32 v[vgprValuC+24], acc243 // copy acc to vreg[252]
v_accvgpr_read_b32 v[vgprValuC+25], acc247 // copy acc to vreg[253]
v_accvgpr_read_b32 v[vgprValuC+26], acc251 // copy acc to vreg[254]
v_accvgpr_read_b32 v[vgprValuC+27], acc255 // copy acc to vreg[255]
s_nop 1                                            // 2 wait states required before reading vgpr

/* apply mask, calc new C and issue writes */
v_mov_b32 v7, 0xffff0000                           // mask for pack two bfloat16 element to 32bit
v_mov_b32 v8, 0x7fff0000                           // fp32 Nan
v_mov_b32 v9, 0x7fff                               // rounding bias for bfloat16
v_cmp_u_f32 s[34:35], v[vgprValuC+12], v[vgprValuC+12] // check Nan
v_bfe_u32 v6, v[vgprValuC+12], 16, 1               // Non-Nan case: store lsb of bf16
v_add3_u32 v6, v[vgprValuC+12], v6, v9             // Non-Nan case: add lsb and the increment for rounding
v_cndmask_b32 v[vgprValuC+12], v6, v8, s[34:35]    // 
v_lshrrev_b32 v[vgprValuC+12], 16, v[vgprValuC+12] // convert C to bf16
v_cmp_u_f32 s[34:35], v[vgprValuC+13], v[vgprValuC+13] // check Nan
v_bfe_u32 v6, v[vgprValuC+13], 16, 1               // Non-Nan case: store lsb of bf16
v_add3_u32 v6, v[vgprValuC+13], v6, v9             // Non-Nan case: add lsb and the increment for rounding
v_cndmask_b32 v[vgprValuC+13], v6, v8, s[34:35]    // 
v_and_or_b32 v12, v[vgprValuC+13], v7, v[vgprValuC+12] // pack two bf16 to dword
v_cmp_u_f32 s[34:35], v[vgprValuC+14], v[vgprValuC+14] // check Nan
v_bfe_u32 v6, v[vgprValuC+14], 16, 1               // Non-Nan case: store lsb of bf16
v_add3_u32 v6, v[vgprValuC+14], v6, v9             // Non-Nan case: add lsb and the increment for rounding
v_cndmask_b32 v[vgprValuC+14], v6, v8, s[34:35]    // 
v_lshrrev_b32 v[vgprValuC+14], 16, v[vgprValuC+14] // convert C to bf16
v_cmp_u_f32 s[34:35], v[vgprValuC+15], v[vgprValuC+15] // check Nan
v_bfe_u32 v6, v[vgprValuC+15], 16, 1               // Non-Nan case: store lsb of bf16
v_add3_u32 v6, v[vgprValuC+15], v6, v9             // Non-Nan case: add lsb and the increment for rounding
v_cndmask_b32 v[vgprValuC+15], v6, v8, s[34:35]    // 
v_and_or_b32 v13, v[vgprValuC+15], v7, v[vgprValuC+14] // pack two bf16 to dword
s_lshl_b32  s34, s[sgprStrideD1J], 1               // incToNextRow: Scale by BPE
s_add_u32  s[sgprSrdD+0], s[sgprSrdD+0], s34       // incToNextRow: gra SRD += inc(lower)
s_addc_u32  s[sgprSrdD+1], s[sgprSrdD+1], 0        // incToNextRow: gra SRD += inc(upper)
_buffer_store_b64 v[12:13], v10, s[sgprSrdD:sgprSrdD+3], 0, offen, offset:0,  sc0 sc1 // store D
v_cmp_u_f32 s[34:35], v[vgprValuC+16], v[vgprValuC+16] // check Nan
v_bfe_u32 v6, v[vgprValuC+16], 16, 1               // Non-Nan case: store lsb of bf16
v_add3_u32 v6, v[vgprValuC+16], v6, v9             // Non-Nan case: add lsb and the increment for rounding
v_cndmask_b32 v[vgprValuC+16], v6, v8, s[34:35]    // 
v_lshrrev_b32 v[vgprValuC+16], 16, v[vgprValuC+16] // convert C to bf16
v_cmp_u_f32 s[34:35], v[vgprValuC+17], v[vgprValuC+17] // check Nan
v_bfe_u32 v6, v[vgprValuC+17], 16, 1               // Non-Nan case: store lsb of bf16
v_add3_u32 v6, v[vgprValuC+17], v6, v9             // Non-Nan case: add lsb and the increment for rounding
v_cndmask_b32 v[vgprValuC+17], v6, v8, s[34:35]    // 
v_and_or_b32 v16, v[vgprValuC+17], v7, v[vgprValuC+16] // pack two bf16 to dword
v_cmp_u_f32 s[34:35], v[vgprValuC+18], v[vgprValuC+18] // check Nan
v_bfe_u32 v6, v[vgprValuC+18], 16, 1               // Non-Nan case: store lsb of bf16
v_add3_u32 v6, v[vgprValuC+18], v6, v9             // Non-Nan case: add lsb and the increment for rounding
v_cndmask_b32 v[vgprValuC+18], v6, v8, s[34:35]    // 
v_lshrrev_b32 v[vgprValuC+18], 16, v[vgprValuC+18] // convert C to bf16
v_cmp_u_f32 s[34:35], v[vgprValuC+19], v[vgprValuC+19] // check Nan
v_bfe_u32 v6, v[vgprValuC+19], 16, 1               // Non-Nan case: store lsb of bf16
v_add3_u32 v6, v[vgprValuC+19], v6, v9             // Non-Nan case: add lsb and the increment for rounding
v_cndmask_b32 v[vgprValuC+19], v6, v8, s[34:35]    // 
v_and_or_b32 v17, v[vgprValuC+19], v7, v[vgprValuC+18] // pack two bf16 to dword
s_lshl_b32  s34, s[sgprStrideD1J], 1               // incToNextRow: Scale by BPE
s_add_u32  s[sgprSrdD+0], s[sgprSrdD+0], s34       // incToNextRow: gra SRD += inc(lower)
s_addc_u32  s[sgprSrdD+1], s[sgprSrdD+1], 0        // incToNextRow: gra SRD += inc(upper)
_buffer_store_b64 v[16:17], v10, s[sgprSrdD:sgprSrdD+3], 0, offen, offset:0,  sc0 sc1 // store D
	;; [unrolled: 24-line block ×4, first 2 shown]
s_nop 0                                            // 1 wait state required when next inst writes vgprs held by previous dwordx4 store inst
s_branch label_GW_End_23                           // jump to end
label_GW_End_23:

s_endpgm                                           // Kernel End
OptNLL_End_15:


/******************************************/
/* Ord. NoLoadLoop - Begin                                      */
/******************************************/


s_and_b32 s33, s[sgprOrigLoopCounter], 1           // test if OrigLoopCounter is Odd ?
s_cbranch_scc0 label_0028                          // Skip odd code if OrigLoopCounter is Even



/* iter 0 (last unrolled loop) */

s_waitcnt vmcnt(12)                                // lgkmcnt=-1 vmcnt=12global read wait for DirectToVgpr

/*  grEndMfmaIndex:0, lwStartMfmaIndex:228, lwEndMfmaIndex:228  */
/*  numMfmaForLR:21, barrierMfmaIndex:234 */
/*  mfmaIndex:0  */
s_waitcnt lgkmcnt(0)                               // lgkmcnt=0 vmcnt=-1wait for prior local read local write old=0, new=0 newLW=0 newLR=0
/* pack scheduling: packAIdx:2, packBIdx:0 */
v_perm_b32 v[vgprValuA_X0_I0+0], v[vgprValuA_X0_I0_D1+0], v[vgprValuA_X0_I0_D0+0], s[sgprPackKForV0] // select K=01 for vector=0
v_perm_b32 v[vgprValuA_X0_I0+1], v[vgprValuA_X0_I0_D3+0], v[vgprValuA_X0_I0_D2+0], s[sgprPackKForV0] // select K=23 for vector=0
v_perm_b32 v[vgprValuA_X0_I0+2], v[vgprValuA_X0_I0_D1+0], v[vgprValuA_X0_I0_D0+0], s[sgprPackKForV1] // select K=01 for vector=1
v_perm_b32 v[vgprValuA_X0_I0+3], v[vgprValuA_X0_I0_D3+0], v[vgprValuA_X0_I0_D2+0], s[sgprPackKForV1] // select K=23 for vector=1
v_mfma_f32_16x16x16_bf16 a[0+0:3+0], v[vgprValuB_X0_I0+0+0+0:vgprValuB_X0_I0+0+0+0+1], v[vgprValuA_X0_I0+0+0+0:vgprValuA_X0_I0+0+0+0+1], a[0:3]
/*  mfmaIndex:1  */
_ds_load_b64 v[vgprValuB_X1_I0+0:vgprValuB_X1_I0+0+1], v[vgprLocalReadAddrB] offset:32 // L -> Reg lro=16 swapByteOffset=0 ti=32 vIdx=0 rIdx=0 oIdx=0 buffer=1 iui=0
s_setprio 3                                        // store optimization
/* pack scheduling: packAIdx:4, packBIdx:0 */
v_perm_b32 v[vgprValuA_X0_I0+4], v[vgprValuA_X0_I0_D1+1], v[vgprValuA_X0_I0_D0+1], s[sgprPackKForV0] // select K=01 for vector=0
v_perm_b32 v[vgprValuA_X0_I0+5], v[vgprValuA_X0_I0_D3+1], v[vgprValuA_X0_I0_D2+1], s[sgprPackKForV0] // select K=23 for vector=0
v_mfma_f32_16x16x16_bf16 a[4+0:7+0], v[vgprValuB_X0_I0+0+0+0:vgprValuB_X0_I0+0+0+0+1], v[vgprValuA_X0_I0+2+0+0:vgprValuA_X0_I0+2+0+0+1], a[4:7]
/*  mfmaIndex:2  */
_ds_load_b64 v[vgprValuB_X1_I0+2:vgprValuB_X1_I0+2+1], v[vgprLocalReadAddrB] offset:160 // L -> Reg lro=16 swapByteOffset=0 ti=32 vIdx=0 rIdx=0 oIdx=0 buffer=1 iui=0
/* pack scheduling: packAIdx:6, packBIdx:0 */
v_perm_b32 v[vgprValuA_X0_I0+6], v[vgprValuA_X0_I0_D1+1], v[vgprValuA_X0_I0_D0+1], s[sgprPackKForV1] // select K=01 for vector=1
v_perm_b32 v[vgprValuA_X0_I0+7], v[vgprValuA_X0_I0_D3+1], v[vgprValuA_X0_I0_D2+1], s[sgprPackKForV1] // select K=23 for vector=1
v_mfma_f32_16x16x16_bf16 a[8+0:11+0], v[vgprValuB_X0_I0+0+0+0:vgprValuB_X0_I0+0+0+0+1], v[vgprValuA_X0_I0+4+0+0:vgprValuA_X0_I0+4+0+0+1], a[8:11]
/*  mfmaIndex:3  */
_ds_load_b64 v[vgprValuB_X1_I0+4:vgprValuB_X1_I0+4+1], v[vgprLocalReadAddrB] offset:4256 // L -> Reg lro=16 swapByteOffset=0 ti=32 vIdx=1 rIdx=0 oIdx=0 buffer=1 iui=0
v_mfma_f32_16x16x16_bf16 a[12+0:15+0], v[vgprValuB_X0_I0+0+0+0:vgprValuB_X0_I0+0+0+0+1], v[vgprValuA_X0_I0+6+0+0:vgprValuA_X0_I0+6+0+0+1], a[12:15]
/*  mfmaIndex:4  */
_ds_load_b64 v[vgprValuB_X1_I0+6:vgprValuB_X1_I0+6+1], v[vgprLocalReadAddrB] offset:4384 // L -> Reg lro=16 swapByteOffset=0 ti=32 vIdx=1 rIdx=0 oIdx=0 buffer=1 iui=0
	;; [unrolled: 3-line block ×14, first 2 shown]
v_mfma_f32_16x16x16_bf16 a[64+0:67+0], v[vgprValuB_X0_I0+8+0+0:vgprValuB_X0_I0+8+0+0+1], v[vgprValuA_X0_I0+0+0+0:vgprValuA_X0_I0+0+0+0+1], a[64:67]
/*  mfmaIndex:17  */
/* localReadsVacancy: latencyLeft 2 */
v_mfma_f32_16x16x16_bf16 a[68+0:71+0], v[vgprValuB_X0_I0+8+0+0:vgprValuB_X0_I0+8+0+0+1], v[vgprValuA_X0_I0+2+0+0:vgprValuA_X0_I0+2+0+0+1], a[68:71]
/*  mfmaIndex:18  */
/* localReadsVacancy: latencyLeft 2 */
	;; [unrolled: 3-line block ×47, first 2 shown]
v_mfma_f32_16x16x16_bf16 a[240+0:243+0], v[vgprValuB_X0_I0+30+0+0:vgprValuB_X0_I0+30+0+0+1], v[vgprValuA_X0_I0+0+0+0:vgprValuA_X0_I0+0+0+0+1], a[240:243]
/* numPrefetchIter=0 */
/* dataAtIterA=-1 numReadsIterA=1 skipReadsIterA=1 readsPerIterA=1 */
/* dataAtIterB=-1 numReadsIterB=1 skipReadsIterB=1 readsPerIterB=16 */


/* iter 1 (last unrolled loop) */

s_waitcnt vmcnt(8)                                 // lgkmcnt=-1 vmcnt=8global read wait for DirectToVgpr

/*  grEndMfmaIndex:0, lwStartMfmaIndex:228, lwEndMfmaIndex:228  */
/*  numMfmaForLR:21, barrierMfmaIndex:234 */
/*  mfmaIndex:64  */
_ds_load_b64 v[vgprValuB_X0_I0+0:vgprValuB_X0_I0+0+1], v[vgprLocalReadAddrB] offset:64 // L -> Reg lro=32 swapByteOffset=0 ti=32 vIdx=0 rIdx=0 oIdx=0 buffer=0 iui=0
s_waitcnt lgkmcnt(1)                               // lgkmcnt=0 vmcnt=-1wait for prior local read local write old=0, new=1 newLW=0 newLR=1
/* pack scheduling: packAIdx:2, packBIdx:0 */
v_perm_b32 v[vgprValuA_X1_I0+0], v[vgprValuA_X1_I0_D1+0], v[vgprValuA_X1_I0_D0+0], s[sgprPackKForV0] // select K=01 for vector=0
v_perm_b32 v[vgprValuA_X1_I0+1], v[vgprValuA_X1_I0_D3+0], v[vgprValuA_X1_I0_D2+0], s[sgprPackKForV0] // select K=23 for vector=0
v_perm_b32 v[vgprValuA_X1_I0+2], v[vgprValuA_X1_I0_D1+0], v[vgprValuA_X1_I0_D0+0], s[sgprPackKForV1] // select K=01 for vector=1
v_perm_b32 v[vgprValuA_X1_I0+3], v[vgprValuA_X1_I0_D3+0], v[vgprValuA_X1_I0_D2+0], s[sgprPackKForV1] // select K=23 for vector=1
v_mfma_f32_16x16x16_bf16 a[0+0:3+0], v[vgprValuB_X1_I0+0+0+0:vgprValuB_X1_I0+0+0+0+1], v[vgprValuA_X1_I0+0+0+0:vgprValuA_X1_I0+0+0+0+1], a[0:3]
/*  mfmaIndex:65  */
_ds_load_b64 v[vgprValuB_X0_I0+2:vgprValuB_X0_I0+2+1], v[vgprLocalReadAddrB] offset:192 // L -> Reg lro=32 swapByteOffset=0 ti=32 vIdx=0 rIdx=0 oIdx=0 buffer=0 iui=0
/* pack scheduling: packAIdx:4, packBIdx:0 */
v_perm_b32 v[vgprValuA_X1_I0+4], v[vgprValuA_X1_I0_D1+1], v[vgprValuA_X1_I0_D0+1], s[sgprPackKForV0] // select K=01 for vector=0
v_perm_b32 v[vgprValuA_X1_I0+5], v[vgprValuA_X1_I0_D3+1], v[vgprValuA_X1_I0_D2+1], s[sgprPackKForV0] // select K=23 for vector=0
v_mfma_f32_16x16x16_bf16 a[4+0:7+0], v[vgprValuB_X1_I0+0+0+0:vgprValuB_X1_I0+0+0+0+1], v[vgprValuA_X1_I0+2+0+0:vgprValuA_X1_I0+2+0+0+1], a[4:7]
/*  mfmaIndex:66  */
_ds_load_b64 v[vgprValuB_X0_I0+4:vgprValuB_X0_I0+4+1], v[vgprLocalReadAddrB] offset:4288 // L -> Reg lro=32 swapByteOffset=0 ti=32 vIdx=1 rIdx=0 oIdx=0 buffer=0 iui=0
/* pack scheduling: packAIdx:6, packBIdx:0 */
v_perm_b32 v[vgprValuA_X1_I0+6], v[vgprValuA_X1_I0_D1+1], v[vgprValuA_X1_I0_D0+1], s[sgprPackKForV1] // select K=01 for vector=1
v_perm_b32 v[vgprValuA_X1_I0+7], v[vgprValuA_X1_I0_D3+1], v[vgprValuA_X1_I0_D2+1], s[sgprPackKForV1] // select K=23 for vector=1
v_mfma_f32_16x16x16_bf16 a[8+0:11+0], v[vgprValuB_X1_I0+0+0+0:vgprValuB_X1_I0+0+0+0+1], v[vgprValuA_X1_I0+4+0+0:vgprValuA_X1_I0+4+0+0+1], a[8:11]
/*  mfmaIndex:67  */
_ds_load_b64 v[vgprValuB_X0_I0+6:vgprValuB_X0_I0+6+1], v[vgprLocalReadAddrB] offset:4416 // L -> Reg lro=32 swapByteOffset=0 ti=32 vIdx=1 rIdx=0 oIdx=0 buffer=0 iui=0
v_mfma_f32_16x16x16_bf16 a[12+0:15+0], v[vgprValuB_X1_I0+0+0+0:vgprValuB_X1_I0+0+0+0+1], v[vgprValuA_X1_I0+6+0+0:vgprValuA_X1_I0+6+0+0+1], a[12:15]
/*  mfmaIndex:68  */
_ds_load_b64 v[vgprValuB_X0_I0+8:vgprValuB_X0_I0+8+1], v[vgprLocalReadAddrB] offset:8512 // L -> Reg lro=32 swapByteOffset=0 ti=32 vIdx=2 rIdx=0 oIdx=0 buffer=0 iui=0
	;; [unrolled: 3-line block ×13, first 2 shown]
v_mfma_f32_16x16x16_bf16 a[48+0:51+0], v[vgprValuB_X1_I0+6+0+0:vgprValuB_X1_I0+6+0+0+1], v[vgprValuA_X1_I0+0+0+0:vgprValuA_X1_I0+0+0+0+1], a[48:51]
/*  mfmaIndex:80  */
/* localReadsVacancy: latencyLeft 2 */
v_mfma_f32_16x16x16_bf16 a[64+0:67+0], v[vgprValuB_X1_I0+8+0+0:vgprValuB_X1_I0+8+0+0+1], v[vgprValuA_X1_I0+0+0+0:vgprValuA_X1_I0+0+0+0+1], a[64:67]
/*  mfmaIndex:81  */
/* localReadsVacancy: latencyLeft 2 */
	;; [unrolled: 3-line block ×48, first 2 shown]
v_mfma_f32_16x16x16_bf16 a[240+0:243+0], v[vgprValuB_X1_I0+30+0+0:vgprValuB_X1_I0+30+0+0+1], v[vgprValuA_X1_I0+0+0+0:vgprValuA_X1_I0+0+0+0+1], a[240:243]
s_setprio 0                                        // store optimization
/* numPrefetchIter=0 */
/* dataAtIterA=0 numReadsIterA=2 skipReadsIterA=1 readsPerIterA=1 */
/* dataAtIterB=0 numReadsIterB=2 skipReadsIterB=1 readsPerIterB=16 */


/* iter 2 (last unrolled loop) */

s_waitcnt vmcnt(4)                                 // lgkmcnt=-1 vmcnt=4global read wait for DirectToVgpr

/*  grEndMfmaIndex:0, lwStartMfmaIndex:228, lwEndMfmaIndex:228  */
/*  numMfmaForLR:21, barrierMfmaIndex:234 */
/*  mfmaIndex:128  */
_ds_load_b64 v[vgprValuB_X1_I0+0:vgprValuB_X1_I0+0+1], v[vgprLocalReadAddrB] offset:96 // L -> Reg lro=48 swapByteOffset=0 ti=32 vIdx=0 rIdx=0 oIdx=0 buffer=1 iui=0
s_waitcnt lgkmcnt(1)                               // lgkmcnt=0 vmcnt=-1wait for prior local read local write old=0, new=1 newLW=0 newLR=1
/* pack scheduling: packAIdx:2, packBIdx:0 */
v_perm_b32 v[vgprValuA_X2_I0+0], v[vgprValuA_X2_I0_D1+0], v[vgprValuA_X2_I0_D0+0], s[sgprPackKForV0] // select K=01 for vector=0
v_perm_b32 v[vgprValuA_X2_I0+1], v[vgprValuA_X2_I0_D3+0], v[vgprValuA_X2_I0_D2+0], s[sgprPackKForV0] // select K=23 for vector=0
v_perm_b32 v[vgprValuA_X2_I0+2], v[vgprValuA_X2_I0_D1+0], v[vgprValuA_X2_I0_D0+0], s[sgprPackKForV1] // select K=01 for vector=1
v_perm_b32 v[vgprValuA_X2_I0+3], v[vgprValuA_X2_I0_D3+0], v[vgprValuA_X2_I0_D2+0], s[sgprPackKForV1] // select K=23 for vector=1
v_mfma_f32_16x16x16_bf16 a[0+0:3+0], v[vgprValuB_X0_I0+0+0+0:vgprValuB_X0_I0+0+0+0+1], v[vgprValuA_X2_I0+0+0+0:vgprValuA_X2_I0+0+0+0+1], a[0:3]
/*  mfmaIndex:129  */
_ds_load_b64 v[vgprValuB_X1_I0+2:vgprValuB_X1_I0+2+1], v[vgprLocalReadAddrB] offset:224 // L -> Reg lro=48 swapByteOffset=0 ti=32 vIdx=0 rIdx=0 oIdx=0 buffer=1 iui=0
/* pack scheduling: packAIdx:4, packBIdx:0 */
v_perm_b32 v[vgprValuA_X2_I0+4], v[vgprValuA_X2_I0_D1+1], v[vgprValuA_X2_I0_D0+1], s[sgprPackKForV0] // select K=01 for vector=0
v_perm_b32 v[vgprValuA_X2_I0+5], v[vgprValuA_X2_I0_D3+1], v[vgprValuA_X2_I0_D2+1], s[sgprPackKForV0] // select K=23 for vector=0
v_mfma_f32_16x16x16_bf16 a[4+0:7+0], v[vgprValuB_X0_I0+0+0+0:vgprValuB_X0_I0+0+0+0+1], v[vgprValuA_X2_I0+2+0+0:vgprValuA_X2_I0+2+0+0+1], a[4:7]
/*  mfmaIndex:130  */
_ds_load_b64 v[vgprValuB_X1_I0+4:vgprValuB_X1_I0+4+1], v[vgprLocalReadAddrB] offset:4320 // L -> Reg lro=48 swapByteOffset=0 ti=32 vIdx=1 rIdx=0 oIdx=0 buffer=1 iui=0
/* pack scheduling: packAIdx:6, packBIdx:0 */
v_perm_b32 v[vgprValuA_X2_I0+6], v[vgprValuA_X2_I0_D1+1], v[vgprValuA_X2_I0_D0+1], s[sgprPackKForV1] // select K=01 for vector=1
v_perm_b32 v[vgprValuA_X2_I0+7], v[vgprValuA_X2_I0_D3+1], v[vgprValuA_X2_I0_D2+1], s[sgprPackKForV1] // select K=23 for vector=1
v_mfma_f32_16x16x16_bf16 a[8+0:11+0], v[vgprValuB_X0_I0+0+0+0:vgprValuB_X0_I0+0+0+0+1], v[vgprValuA_X2_I0+4+0+0:vgprValuA_X2_I0+4+0+0+1], a[8:11]
/*  mfmaIndex:131  */
_ds_load_b64 v[vgprValuB_X1_I0+6:vgprValuB_X1_I0+6+1], v[vgprLocalReadAddrB] offset:4448 // L -> Reg lro=48 swapByteOffset=0 ti=32 vIdx=1 rIdx=0 oIdx=0 buffer=1 iui=0
v_mfma_f32_16x16x16_bf16 a[12+0:15+0], v[vgprValuB_X0_I0+0+0+0:vgprValuB_X0_I0+0+0+0+1], v[vgprValuA_X2_I0+6+0+0:vgprValuA_X2_I0+6+0+0+1], a[12:15]
/*  mfmaIndex:132  */
_ds_load_b64 v[vgprValuB_X1_I0+8:vgprValuB_X1_I0+8+1], v[vgprLocalReadAddrB] offset:8544 // L -> Reg lro=48 swapByteOffset=0 ti=32 vIdx=2 rIdx=0 oIdx=0 buffer=1 iui=0
	;; [unrolled: 3-line block ×13, first 2 shown]
v_mfma_f32_16x16x16_bf16 a[48+0:51+0], v[vgprValuB_X0_I0+6+0+0:vgprValuB_X0_I0+6+0+0+1], v[vgprValuA_X2_I0+0+0+0:vgprValuA_X2_I0+0+0+0+1], a[48:51]
/*  mfmaIndex:144  */
/* localReadsVacancy: latencyLeft 2 */
v_mfma_f32_16x16x16_bf16 a[64+0:67+0], v[vgprValuB_X0_I0+8+0+0:vgprValuB_X0_I0+8+0+0+1], v[vgprValuA_X2_I0+0+0+0:vgprValuA_X2_I0+0+0+0+1], a[64:67]
/*  mfmaIndex:145  */
/* localReadsVacancy: latencyLeft 2 */
v_mfma_f32_16x16x16_bf16 a[68+0:71+0], v[vgprValuB_X0_I0+8+0+0:vgprValuB_X0_I0+8+0+0+1], v[vgprValuA_X2_I0+2+0+0:vgprValuA_X2_I0+2+0+0+1], a[68:71]
/*  mfmaIndex:146  */
/* localReadsVacancy: latencyLeft 2 */
v_mfma_f32_16x16x16_bf16 a[72+0:75+0], v[vgprValuB_X0_I0+8+0+0:vgprValuB_X0_I0+8+0+0+1], v[vgprValuA_X2_I0+4+0+0:vgprValuA_X2_I0+4+0+0+1], a[72:75]
/*  mfmaIndex:147  */
/* localReadsVacancy: latencyLeft 2 */
v_mfma_f32_16x16x16_bf16 a[76+0:79+0], v[vgprValuB_X0_I0+8+0+0:vgprValuB_X0_I0+8+0+0+1], v[vgprValuA_X2_I0+6+0+0:vgprValuA_X2_I0+6+0+0+1], a[76:79]
/*  mfmaIndex:148  */
/* localReadsVacancy: latencyLeft 2 */
v_mfma_f32_16x16x16_bf16 a[92+0:95+0], v[vgprValuB_X0_I0+10+0+0:vgprValuB_X0_I0+10+0+0+1], v[vgprValuA_X2_I0+6+0+0:vgprValuA_X2_I0+6+0+0+1], a[92:95]
/*  mfmaIndex:149  */
/* localReadsVacancy: latencyLeft 2 */
v_mfma_f32_16x16x16_bf16 a[88+0:91+0], v[vgprValuB_X0_I0+10+0+0:vgprValuB_X0_I0+10+0+0+1], v[vgprValuA_X2_I0+4+0+0:vgprValuA_X2_I0+4+0+0+1], a[88:91]
/*  mfmaIndex:150  */
/* localReadsVacancy: latencyLeft 2 */
v_mfma_f32_16x16x16_bf16 a[84+0:87+0], v[vgprValuB_X0_I0+10+0+0:vgprValuB_X0_I0+10+0+0+1], v[vgprValuA_X2_I0+2+0+0:vgprValuA_X2_I0+2+0+0+1], a[84:87]
/*  mfmaIndex:151  */
/* localReadsVacancy: latencyLeft 2 */
v_mfma_f32_16x16x16_bf16 a[80+0:83+0], v[vgprValuB_X0_I0+10+0+0:vgprValuB_X0_I0+10+0+0+1], v[vgprValuA_X2_I0+0+0+0:vgprValuA_X2_I0+0+0+0+1], a[80:83]
/*  mfmaIndex:152  */
/* localReadsVacancy: latencyLeft 2 */
v_mfma_f32_16x16x16_bf16 a[96+0:99+0], v[vgprValuB_X0_I0+12+0+0:vgprValuB_X0_I0+12+0+0+1], v[vgprValuA_X2_I0+0+0+0:vgprValuA_X2_I0+0+0+0+1], a[96:99]
/*  mfmaIndex:153  */
/* localReadsVacancy: latencyLeft 2 */
v_mfma_f32_16x16x16_bf16 a[100+0:103+0], v[vgprValuB_X0_I0+12+0+0:vgprValuB_X0_I0+12+0+0+1], v[vgprValuA_X2_I0+2+0+0:vgprValuA_X2_I0+2+0+0+1], a[100:103]
/*  mfmaIndex:154  */
/* localReadsVacancy: latencyLeft 2 */
v_mfma_f32_16x16x16_bf16 a[104+0:107+0], v[vgprValuB_X0_I0+12+0+0:vgprValuB_X0_I0+12+0+0+1], v[vgprValuA_X2_I0+4+0+0:vgprValuA_X2_I0+4+0+0+1], a[104:107]
/*  mfmaIndex:155  */
/* localReadsVacancy: latencyLeft 2 */
v_mfma_f32_16x16x16_bf16 a[108+0:111+0], v[vgprValuB_X0_I0+12+0+0:vgprValuB_X0_I0+12+0+0+1], v[vgprValuA_X2_I0+6+0+0:vgprValuA_X2_I0+6+0+0+1], a[108:111]
/*  mfmaIndex:156  */
/* localReadsVacancy: latencyLeft 2 */
v_mfma_f32_16x16x16_bf16 a[124+0:127+0], v[vgprValuB_X0_I0+14+0+0:vgprValuB_X0_I0+14+0+0+1], v[vgprValuA_X2_I0+6+0+0:vgprValuA_X2_I0+6+0+0+1], a[124:127]
/*  mfmaIndex:157  */
/* localReadsVacancy: latencyLeft 2 */
v_mfma_f32_16x16x16_bf16 a[120+0:123+0], v[vgprValuB_X0_I0+14+0+0:vgprValuB_X0_I0+14+0+0+1], v[vgprValuA_X2_I0+4+0+0:vgprValuA_X2_I0+4+0+0+1], a[120:123]
/*  mfmaIndex:158  */
/* localReadsVacancy: latencyLeft 2 */
v_mfma_f32_16x16x16_bf16 a[116+0:119+0], v[vgprValuB_X0_I0+14+0+0:vgprValuB_X0_I0+14+0+0+1], v[vgprValuA_X2_I0+2+0+0:vgprValuA_X2_I0+2+0+0+1], a[116:119]
/*  mfmaIndex:159  */
/* localReadsVacancy: latencyLeft 2 */
v_mfma_f32_16x16x16_bf16 a[112+0:115+0], v[vgprValuB_X0_I0+14+0+0:vgprValuB_X0_I0+14+0+0+1], v[vgprValuA_X2_I0+0+0+0:vgprValuA_X2_I0+0+0+0+1], a[112:115]
/*  mfmaIndex:160  */
/* localReadsVacancy: latencyLeft 2 */
v_mfma_f32_16x16x16_bf16 a[128+0:131+0], v[vgprValuB_X0_I0+16+0+0:vgprValuB_X0_I0+16+0+0+1], v[vgprValuA_X2_I0+0+0+0:vgprValuA_X2_I0+0+0+0+1], a[128:131]
/*  mfmaIndex:161  */
/* localReadsVacancy: latencyLeft 2 */
v_mfma_f32_16x16x16_bf16 a[132+0:135+0], v[vgprValuB_X0_I0+16+0+0:vgprValuB_X0_I0+16+0+0+1], v[vgprValuA_X2_I0+2+0+0:vgprValuA_X2_I0+2+0+0+1], a[132:135]
/*  mfmaIndex:162  */
/* localReadsVacancy: latencyLeft 2 */
v_mfma_f32_16x16x16_bf16 a[136+0:139+0], v[vgprValuB_X0_I0+16+0+0:vgprValuB_X0_I0+16+0+0+1], v[vgprValuA_X2_I0+4+0+0:vgprValuA_X2_I0+4+0+0+1], a[136:139]
/*  mfmaIndex:163  */
/* localReadsVacancy: latencyLeft 2 */
v_mfma_f32_16x16x16_bf16 a[140+0:143+0], v[vgprValuB_X0_I0+16+0+0:vgprValuB_X0_I0+16+0+0+1], v[vgprValuA_X2_I0+6+0+0:vgprValuA_X2_I0+6+0+0+1], a[140:143]
/*  mfmaIndex:164  */
/* localReadsVacancy: latencyLeft 2 */
v_mfma_f32_16x16x16_bf16 a[156+0:159+0], v[vgprValuB_X0_I0+18+0+0:vgprValuB_X0_I0+18+0+0+1], v[vgprValuA_X2_I0+6+0+0:vgprValuA_X2_I0+6+0+0+1], a[156:159]
/*  mfmaIndex:165  */
/* localReadsVacancy: latencyLeft 2 */
v_mfma_f32_16x16x16_bf16 a[152+0:155+0], v[vgprValuB_X0_I0+18+0+0:vgprValuB_X0_I0+18+0+0+1], v[vgprValuA_X2_I0+4+0+0:vgprValuA_X2_I0+4+0+0+1], a[152:155]
/*  mfmaIndex:166  */
/* localReadsVacancy: latencyLeft 2 */
v_mfma_f32_16x16x16_bf16 a[148+0:151+0], v[vgprValuB_X0_I0+18+0+0:vgprValuB_X0_I0+18+0+0+1], v[vgprValuA_X2_I0+2+0+0:vgprValuA_X2_I0+2+0+0+1], a[148:151]
/*  mfmaIndex:167  */
/* localReadsVacancy: latencyLeft 2 */
v_mfma_f32_16x16x16_bf16 a[144+0:147+0], v[vgprValuB_X0_I0+18+0+0:vgprValuB_X0_I0+18+0+0+1], v[vgprValuA_X2_I0+0+0+0:vgprValuA_X2_I0+0+0+0+1], a[144:147]
/*  mfmaIndex:168  */
/* localReadsVacancy: latencyLeft 2 */
v_mfma_f32_16x16x16_bf16 a[160+0:163+0], v[vgprValuB_X0_I0+20+0+0:vgprValuB_X0_I0+20+0+0+1], v[vgprValuA_X2_I0+0+0+0:vgprValuA_X2_I0+0+0+0+1], a[160:163]
/*  mfmaIndex:169  */
/* localReadsVacancy: latencyLeft 2 */
v_mfma_f32_16x16x16_bf16 a[164+0:167+0], v[vgprValuB_X0_I0+20+0+0:vgprValuB_X0_I0+20+0+0+1], v[vgprValuA_X2_I0+2+0+0:vgprValuA_X2_I0+2+0+0+1], a[164:167]
/*  mfmaIndex:170  */
/* localReadsVacancy: latencyLeft 2 */
v_mfma_f32_16x16x16_bf16 a[168+0:171+0], v[vgprValuB_X0_I0+20+0+0:vgprValuB_X0_I0+20+0+0+1], v[vgprValuA_X2_I0+4+0+0:vgprValuA_X2_I0+4+0+0+1], a[168:171]
/*  mfmaIndex:171  */
/* localReadsVacancy: latencyLeft 2 */
v_mfma_f32_16x16x16_bf16 a[172+0:175+0], v[vgprValuB_X0_I0+20+0+0:vgprValuB_X0_I0+20+0+0+1], v[vgprValuA_X2_I0+6+0+0:vgprValuA_X2_I0+6+0+0+1], a[172:175]
/*  mfmaIndex:172  */
/* localReadsVacancy: latencyLeft 2 */
v_mfma_f32_16x16x16_bf16 a[188+0:191+0], v[vgprValuB_X0_I0+22+0+0:vgprValuB_X0_I0+22+0+0+1], v[vgprValuA_X2_I0+6+0+0:vgprValuA_X2_I0+6+0+0+1], a[188:191]
/*  mfmaIndex:173  */
/* localReadsVacancy: latencyLeft 2 */
v_mfma_f32_16x16x16_bf16 a[184+0:187+0], v[vgprValuB_X0_I0+22+0+0:vgprValuB_X0_I0+22+0+0+1], v[vgprValuA_X2_I0+4+0+0:vgprValuA_X2_I0+4+0+0+1], a[184:187]
/*  mfmaIndex:174  */
/* localReadsVacancy: latencyLeft 2 */
v_mfma_f32_16x16x16_bf16 a[180+0:183+0], v[vgprValuB_X0_I0+22+0+0:vgprValuB_X0_I0+22+0+0+1], v[vgprValuA_X2_I0+2+0+0:vgprValuA_X2_I0+2+0+0+1], a[180:183]
/*  mfmaIndex:175  */
/* localReadsVacancy: latencyLeft 2 */
v_mfma_f32_16x16x16_bf16 a[176+0:179+0], v[vgprValuB_X0_I0+22+0+0:vgprValuB_X0_I0+22+0+0+1], v[vgprValuA_X2_I0+0+0+0:vgprValuA_X2_I0+0+0+0+1], a[176:179]
/*  mfmaIndex:176  */
/* localReadsVacancy: latencyLeft 2 */
v_mfma_f32_16x16x16_bf16 a[192+0:195+0], v[vgprValuB_X0_I0+24+0+0:vgprValuB_X0_I0+24+0+0+1], v[vgprValuA_X2_I0+0+0+0:vgprValuA_X2_I0+0+0+0+1], a[192:195]
/*  mfmaIndex:177  */
/* localReadsVacancy: latencyLeft 2 */
v_mfma_f32_16x16x16_bf16 a[196+0:199+0], v[vgprValuB_X0_I0+24+0+0:vgprValuB_X0_I0+24+0+0+1], v[vgprValuA_X2_I0+2+0+0:vgprValuA_X2_I0+2+0+0+1], a[196:199]
/*  mfmaIndex:178  */
/* localReadsVacancy: latencyLeft 2 */
v_mfma_f32_16x16x16_bf16 a[200+0:203+0], v[vgprValuB_X0_I0+24+0+0:vgprValuB_X0_I0+24+0+0+1], v[vgprValuA_X2_I0+4+0+0:vgprValuA_X2_I0+4+0+0+1], a[200:203]
/*  mfmaIndex:179  */
/* localReadsVacancy: latencyLeft 2 */
v_mfma_f32_16x16x16_bf16 a[204+0:207+0], v[vgprValuB_X0_I0+24+0+0:vgprValuB_X0_I0+24+0+0+1], v[vgprValuA_X2_I0+6+0+0:vgprValuA_X2_I0+6+0+0+1], a[204:207]
/*  mfmaIndex:180  */
/* localReadsVacancy: latencyLeft 2 */
v_mfma_f32_16x16x16_bf16 a[220+0:223+0], v[vgprValuB_X0_I0+26+0+0:vgprValuB_X0_I0+26+0+0+1], v[vgprValuA_X2_I0+6+0+0:vgprValuA_X2_I0+6+0+0+1], a[220:223]
/*  mfmaIndex:181  */
/* localReadsVacancy: latencyLeft 2 */
v_mfma_f32_16x16x16_bf16 a[216+0:219+0], v[vgprValuB_X0_I0+26+0+0:vgprValuB_X0_I0+26+0+0+1], v[vgprValuA_X2_I0+4+0+0:vgprValuA_X2_I0+4+0+0+1], a[216:219]
/*  mfmaIndex:182  */
/* localReadsVacancy: latencyLeft 2 */
v_mfma_f32_16x16x16_bf16 a[212+0:215+0], v[vgprValuB_X0_I0+26+0+0:vgprValuB_X0_I0+26+0+0+1], v[vgprValuA_X2_I0+2+0+0:vgprValuA_X2_I0+2+0+0+1], a[212:215]
/*  mfmaIndex:183  */
/* localReadsVacancy: latencyLeft 2 */
v_mfma_f32_16x16x16_bf16 a[208+0:211+0], v[vgprValuB_X0_I0+26+0+0:vgprValuB_X0_I0+26+0+0+1], v[vgprValuA_X2_I0+0+0+0:vgprValuA_X2_I0+0+0+0+1], a[208:211]
/*  mfmaIndex:184  */
/* localReadsVacancy: latencyLeft 2 */
v_mfma_f32_16x16x16_bf16 a[224+0:227+0], v[vgprValuB_X0_I0+28+0+0:vgprValuB_X0_I0+28+0+0+1], v[vgprValuA_X2_I0+0+0+0:vgprValuA_X2_I0+0+0+0+1], a[224:227]
/*  mfmaIndex:185  */
/* localReadsVacancy: latencyLeft 2 */
v_mfma_f32_16x16x16_bf16 a[228+0:231+0], v[vgprValuB_X0_I0+28+0+0:vgprValuB_X0_I0+28+0+0+1], v[vgprValuA_X2_I0+2+0+0:vgprValuA_X2_I0+2+0+0+1], a[228:231]
/*  mfmaIndex:186  */
/* localReadsVacancy: latencyLeft 2 */
v_mfma_f32_16x16x16_bf16 a[232+0:235+0], v[vgprValuB_X0_I0+28+0+0:vgprValuB_X0_I0+28+0+0+1], v[vgprValuA_X2_I0+4+0+0:vgprValuA_X2_I0+4+0+0+1], a[232:235]
/*  mfmaIndex:187  */
/* localReadsVacancy: latencyLeft 2 */
v_mfma_f32_16x16x16_bf16 a[236+0:239+0], v[vgprValuB_X0_I0+28+0+0:vgprValuB_X0_I0+28+0+0+1], v[vgprValuA_X2_I0+6+0+0:vgprValuA_X2_I0+6+0+0+1], a[236:239]
/*  mfmaIndex:188  */
/* localReadsVacancy: latencyLeft 2 */
v_mfma_f32_16x16x16_bf16 a[252+0:255+0], v[vgprValuB_X0_I0+30+0+0:vgprValuB_X0_I0+30+0+0+1], v[vgprValuA_X2_I0+6+0+0:vgprValuA_X2_I0+6+0+0+1], a[252:255]
/*  mfmaIndex:189  */
/* localReadsVacancy: latencyLeft 2 */
v_mfma_f32_16x16x16_bf16 a[248+0:251+0], v[vgprValuB_X0_I0+30+0+0:vgprValuB_X0_I0+30+0+0+1], v[vgprValuA_X2_I0+4+0+0:vgprValuA_X2_I0+4+0+0+1], a[248:251]
/*  mfmaIndex:190  */
/* localReadsVacancy: latencyLeft 2 */
v_mfma_f32_16x16x16_bf16 a[244+0:247+0], v[vgprValuB_X0_I0+30+0+0:vgprValuB_X0_I0+30+0+0+1], v[vgprValuA_X2_I0+2+0+0:vgprValuA_X2_I0+2+0+0+1], a[244:247]
/*  mfmaIndex:191  */
/* localReadsVacancy: latencyLeft 2 */
v_mfma_f32_16x16x16_bf16 a[240+0:243+0], v[vgprValuB_X0_I0+30+0+0:vgprValuB_X0_I0+30+0+0+1], v[vgprValuA_X2_I0+0+0+0:vgprValuA_X2_I0+0+0+0+1], a[240:243]
/* numPrefetchIter=0 */
/* dataAtIterA=1 numReadsIterA=3 skipReadsIterA=1 readsPerIterA=1 */
/* dataAtIterB=1 numReadsIterB=3 skipReadsIterB=1 readsPerIterB=16 */


/* iter 3 (last unrolled loop) */

s_waitcnt vmcnt(0)                                 // lgkmcnt=-1 vmcnt=0global read wait for DirectToVgpr

/*  grEndMfmaIndex:0, lwStartMfmaIndex:228, lwEndMfmaIndex:228  */
/*  numMfmaForLR:21, barrierMfmaIndex:234 */
/*  mfmaIndex:192  */
s_waitcnt lgkmcnt(0)                               // lgkmcnt=0 vmcnt=-1wait for prior local read local write old=0, new=0 newLW=0 newLR=0
/* pack scheduling: packAIdx:2, packBIdx:0 */
v_perm_b32 v[vgprValuA_X3_I0+0], v[vgprValuA_X3_I0_D1+0], v[vgprValuA_X3_I0_D0+0], s[sgprPackKForV0] // select K=01 for vector=0
v_perm_b32 v[vgprValuA_X3_I0+1], v[vgprValuA_X3_I0_D3+0], v[vgprValuA_X3_I0_D2+0], s[sgprPackKForV0] // select K=23 for vector=0
v_perm_b32 v[vgprValuA_X3_I0+2], v[vgprValuA_X3_I0_D1+0], v[vgprValuA_X3_I0_D0+0], s[sgprPackKForV1] // select K=01 for vector=1
v_perm_b32 v[vgprValuA_X3_I0+3], v[vgprValuA_X3_I0_D3+0], v[vgprValuA_X3_I0_D2+0], s[sgprPackKForV1] // select K=23 for vector=1
v_mfma_f32_16x16x16_bf16 a[0+0:3+0], v[vgprValuB_X1_I0+0+0+0:vgprValuB_X1_I0+0+0+0+1], v[vgprValuA_X3_I0+0+0+0:vgprValuA_X3_I0+0+0+0+1], a[0:3]
/*  mfmaIndex:193  */
/* pack scheduling: packAIdx:4, packBIdx:0 */
v_perm_b32 v[vgprValuA_X3_I0+4], v[vgprValuA_X3_I0_D1+1], v[vgprValuA_X3_I0_D0+1], s[sgprPackKForV0] // select K=01 for vector=0
v_perm_b32 v[vgprValuA_X3_I0+5], v[vgprValuA_X3_I0_D3+1], v[vgprValuA_X3_I0_D2+1], s[sgprPackKForV0] // select K=23 for vector=0
v_mfma_f32_16x16x16_bf16 a[4+0:7+0], v[vgprValuB_X1_I0+0+0+0:vgprValuB_X1_I0+0+0+0+1], v[vgprValuA_X3_I0+2+0+0:vgprValuA_X3_I0+2+0+0+1], a[4:7]
/*  mfmaIndex:194  */
/* pack scheduling: packAIdx:6, packBIdx:0 */
v_perm_b32 v[vgprValuA_X3_I0+6], v[vgprValuA_X3_I0_D1+1], v[vgprValuA_X3_I0_D0+1], s[sgprPackKForV1] // select K=01 for vector=1
v_perm_b32 v[vgprValuA_X3_I0+7], v[vgprValuA_X3_I0_D3+1], v[vgprValuA_X3_I0_D2+1], s[sgprPackKForV1] // select K=23 for vector=1
v_mfma_f32_16x16x16_bf16 a[8+0:11+0], v[vgprValuB_X1_I0+0+0+0:vgprValuB_X1_I0+0+0+0+1], v[vgprValuA_X3_I0+4+0+0:vgprValuA_X3_I0+4+0+0+1], a[8:11]
/*  mfmaIndex:195  */
v_mfma_f32_16x16x16_bf16 a[12+0:15+0], v[vgprValuB_X1_I0+0+0+0:vgprValuB_X1_I0+0+0+0+1], v[vgprValuA_X3_I0+6+0+0:vgprValuA_X3_I0+6+0+0+1], a[12:15]
/*  mfmaIndex:196  */
	;; [unrolled: 2-line block ×33, first 2 shown]
/* 1 LDS buffer: read-sync-write */
s_waitcnt lgkmcnt(0)                               // 
s_barrier                                          // 
v_mfma_f32_16x16x16_bf16 a[140+0:143+0], v[vgprValuB_X1_I0+16+0+0:vgprValuB_X1_I0+16+0+0+1], v[vgprValuA_X3_I0+6+0+0:vgprValuA_X3_I0+6+0+0+1], a[140:143]
/*  mfmaIndex:228  */
v_mfma_f32_16x16x16_bf16 a[156+0:159+0], v[vgprValuB_X1_I0+18+0+0:vgprValuB_X1_I0+18+0+0+1], v[vgprValuA_X3_I0+6+0+0:vgprValuA_X3_I0+6+0+0+1], a[156:159]
/*  mfmaIndex:229  */
	;; [unrolled: 2-line block ×28, first 2 shown]
v_mfma_f32_16x16x16_bf16 a[240+0:243+0], v[vgprValuB_X1_I0+30+0+0:vgprValuB_X1_I0+30+0+0+1], v[vgprValuA_X3_I0+0+0+0:vgprValuA_X3_I0+0+0+0+1], a[240:243]
/* numPrefetchIter=0 */
/* dataAtIterA=2 numReadsIterA=3 skipReadsIterA=0 readsPerIterA=1 */
/* dataAtIterB=2 numReadsIterB=3 skipReadsIterB=0 readsPerIterB=16 */

s_branch label_0029                                // Skip even code
label_0028: // EvenStartNoLoadLoopOrd 


	;; [unrolled: 1-line block ×3, first 2 shown]
/* iter 0 (last unrolled loop) */

s_waitcnt vmcnt(12)                                // lgkmcnt=-1 vmcnt=12global read wait for DirectToVgpr

/*  grEndMfmaIndex:0, lwStartMfmaIndex:228, lwEndMfmaIndex:228  */
/*  numMfmaForLR:21, barrierMfmaIndex:234 */
/*  mfmaIndex:0  */
s_waitcnt lgkmcnt(0)                               // lgkmcnt=0 vmcnt=-1wait for prior local read local write old=0, new=0 newLW=0 newLR=0
/* pack scheduling: packAIdx:2, packBIdx:0 */
v_perm_b32 v[vgprValuA_X4_I0+0], v[vgprValuA_X4_I0_D1+0], v[vgprValuA_X4_I0_D0+0], s[sgprPackKForV0] // select K=01 for vector=0
v_perm_b32 v[vgprValuA_X4_I0+1], v[vgprValuA_X4_I0_D3+0], v[vgprValuA_X4_I0_D2+0], s[sgprPackKForV0] // select K=23 for vector=0
v_perm_b32 v[vgprValuA_X4_I0+2], v[vgprValuA_X4_I0_D1+0], v[vgprValuA_X4_I0_D0+0], s[sgprPackKForV1] // select K=01 for vector=1
v_perm_b32 v[vgprValuA_X4_I0+3], v[vgprValuA_X4_I0_D3+0], v[vgprValuA_X4_I0_D2+0], s[sgprPackKForV1] // select K=23 for vector=1
v_mfma_f32_16x16x16_bf16 a[0+0:3+0], v[vgprValuB_X0_I0+0+0+0:vgprValuB_X0_I0+0+0+0+1], v[vgprValuA_X4_I0+0+0+0:vgprValuA_X4_I0+0+0+0+1], a[0:3]
/*  mfmaIndex:1  */
_ds_load_b64 v[vgprValuB_X1_I0+0:vgprValuB_X1_I0+0+1], v[vgprLocalReadAddrB] offset:32 // L -> Reg lro=16 swapByteOffset=0 ti=32 vIdx=0 rIdx=0 oIdx=0 buffer=1 iui=0
s_setprio 3                                        // store optimization
/* pack scheduling: packAIdx:4, packBIdx:0 */
v_perm_b32 v[vgprValuA_X4_I0+4], v[vgprValuA_X4_I0_D1+1], v[vgprValuA_X4_I0_D0+1], s[sgprPackKForV0] // select K=01 for vector=0
v_perm_b32 v[vgprValuA_X4_I0+5], v[vgprValuA_X4_I0_D3+1], v[vgprValuA_X4_I0_D2+1], s[sgprPackKForV0] // select K=23 for vector=0
v_mfma_f32_16x16x16_bf16 a[4+0:7+0], v[vgprValuB_X0_I0+0+0+0:vgprValuB_X0_I0+0+0+0+1], v[vgprValuA_X4_I0+2+0+0:vgprValuA_X4_I0+2+0+0+1], a[4:7]
/*  mfmaIndex:2  */
_ds_load_b64 v[vgprValuB_X1_I0+2:vgprValuB_X1_I0+2+1], v[vgprLocalReadAddrB] offset:160 // L -> Reg lro=16 swapByteOffset=0 ti=32 vIdx=0 rIdx=0 oIdx=0 buffer=1 iui=0
/* pack scheduling: packAIdx:6, packBIdx:0 */
v_perm_b32 v[vgprValuA_X4_I0+6], v[vgprValuA_X4_I0_D1+1], v[vgprValuA_X4_I0_D0+1], s[sgprPackKForV1] // select K=01 for vector=1
v_perm_b32 v[vgprValuA_X4_I0+7], v[vgprValuA_X4_I0_D3+1], v[vgprValuA_X4_I0_D2+1], s[sgprPackKForV1] // select K=23 for vector=1
v_mfma_f32_16x16x16_bf16 a[8+0:11+0], v[vgprValuB_X0_I0+0+0+0:vgprValuB_X0_I0+0+0+0+1], v[vgprValuA_X4_I0+4+0+0:vgprValuA_X4_I0+4+0+0+1], a[8:11]
/*  mfmaIndex:3  */
_ds_load_b64 v[vgprValuB_X1_I0+4:vgprValuB_X1_I0+4+1], v[vgprLocalReadAddrB] offset:4256 // L -> Reg lro=16 swapByteOffset=0 ti=32 vIdx=1 rIdx=0 oIdx=0 buffer=1 iui=0
v_mfma_f32_16x16x16_bf16 a[12+0:15+0], v[vgprValuB_X0_I0+0+0+0:vgprValuB_X0_I0+0+0+0+1], v[vgprValuA_X4_I0+6+0+0:vgprValuA_X4_I0+6+0+0+1], a[12:15]
/*  mfmaIndex:4  */
_ds_load_b64 v[vgprValuB_X1_I0+6:vgprValuB_X1_I0+6+1], v[vgprLocalReadAddrB] offset:4384 // L -> Reg lro=16 swapByteOffset=0 ti=32 vIdx=1 rIdx=0 oIdx=0 buffer=1 iui=0
	;; [unrolled: 3-line block ×14, first 2 shown]
v_mfma_f32_16x16x16_bf16 a[64+0:67+0], v[vgprValuB_X0_I0+8+0+0:vgprValuB_X0_I0+8+0+0+1], v[vgprValuA_X4_I0+0+0+0:vgprValuA_X4_I0+0+0+0+1], a[64:67]
/*  mfmaIndex:17  */
/* localReadsVacancy: latencyLeft 2 */
v_mfma_f32_16x16x16_bf16 a[68+0:71+0], v[vgprValuB_X0_I0+8+0+0:vgprValuB_X0_I0+8+0+0+1], v[vgprValuA_X4_I0+2+0+0:vgprValuA_X4_I0+2+0+0+1], a[68:71]
/*  mfmaIndex:18  */
/* localReadsVacancy: latencyLeft 2 */
	;; [unrolled: 3-line block ×47, first 2 shown]
v_mfma_f32_16x16x16_bf16 a[240+0:243+0], v[vgprValuB_X0_I0+30+0+0:vgprValuB_X0_I0+30+0+0+1], v[vgprValuA_X4_I0+0+0+0:vgprValuA_X4_I0+0+0+0+1], a[240:243]
/* numPrefetchIter=0 */
/* dataAtIterA=-1 numReadsIterA=1 skipReadsIterA=1 readsPerIterA=1 */
/* dataAtIterB=-1 numReadsIterB=1 skipReadsIterB=1 readsPerIterB=16 */


/* iter 1 (last unrolled loop) */

s_waitcnt vmcnt(8)                                 // lgkmcnt=-1 vmcnt=8global read wait for DirectToVgpr

/*  grEndMfmaIndex:0, lwStartMfmaIndex:228, lwEndMfmaIndex:228  */
/*  numMfmaForLR:21, barrierMfmaIndex:234 */
/*  mfmaIndex:64  */
_ds_load_b64 v[vgprValuB_X0_I0+0:vgprValuB_X0_I0+0+1], v[vgprLocalReadAddrB] offset:64 // L -> Reg lro=32 swapByteOffset=0 ti=32 vIdx=0 rIdx=0 oIdx=0 buffer=0 iui=0
s_waitcnt lgkmcnt(1)                               // lgkmcnt=0 vmcnt=-1wait for prior local read local write old=0, new=1 newLW=0 newLR=1
/* pack scheduling: packAIdx:2, packBIdx:0 */
v_perm_b32 v[vgprValuA_X5_I0+0], v[vgprValuA_X5_I0_D1+0], v[vgprValuA_X5_I0_D0+0], s[sgprPackKForV0] // select K=01 for vector=0
v_perm_b32 v[vgprValuA_X5_I0+1], v[vgprValuA_X5_I0_D3+0], v[vgprValuA_X5_I0_D2+0], s[sgprPackKForV0] // select K=23 for vector=0
v_perm_b32 v[vgprValuA_X5_I0+2], v[vgprValuA_X5_I0_D1+0], v[vgprValuA_X5_I0_D0+0], s[sgprPackKForV1] // select K=01 for vector=1
v_perm_b32 v[vgprValuA_X5_I0+3], v[vgprValuA_X5_I0_D3+0], v[vgprValuA_X5_I0_D2+0], s[sgprPackKForV1] // select K=23 for vector=1
v_mfma_f32_16x16x16_bf16 a[0+0:3+0], v[vgprValuB_X1_I0+0+0+0:vgprValuB_X1_I0+0+0+0+1], v[vgprValuA_X5_I0+0+0+0:vgprValuA_X5_I0+0+0+0+1], a[0:3]
/*  mfmaIndex:65  */
_ds_load_b64 v[vgprValuB_X0_I0+2:vgprValuB_X0_I0+2+1], v[vgprLocalReadAddrB] offset:192 // L -> Reg lro=32 swapByteOffset=0 ti=32 vIdx=0 rIdx=0 oIdx=0 buffer=0 iui=0
/* pack scheduling: packAIdx:4, packBIdx:0 */
v_perm_b32 v[vgprValuA_X5_I0+4], v[vgprValuA_X5_I0_D1+1], v[vgprValuA_X5_I0_D0+1], s[sgprPackKForV0] // select K=01 for vector=0
v_perm_b32 v[vgprValuA_X5_I0+5], v[vgprValuA_X5_I0_D3+1], v[vgprValuA_X5_I0_D2+1], s[sgprPackKForV0] // select K=23 for vector=0
v_mfma_f32_16x16x16_bf16 a[4+0:7+0], v[vgprValuB_X1_I0+0+0+0:vgprValuB_X1_I0+0+0+0+1], v[vgprValuA_X5_I0+2+0+0:vgprValuA_X5_I0+2+0+0+1], a[4:7]
/*  mfmaIndex:66  */
_ds_load_b64 v[vgprValuB_X0_I0+4:vgprValuB_X0_I0+4+1], v[vgprLocalReadAddrB] offset:4288 // L -> Reg lro=32 swapByteOffset=0 ti=32 vIdx=1 rIdx=0 oIdx=0 buffer=0 iui=0
/* pack scheduling: packAIdx:6, packBIdx:0 */
v_perm_b32 v[vgprValuA_X5_I0+6], v[vgprValuA_X5_I0_D1+1], v[vgprValuA_X5_I0_D0+1], s[sgprPackKForV1] // select K=01 for vector=1
v_perm_b32 v[vgprValuA_X5_I0+7], v[vgprValuA_X5_I0_D3+1], v[vgprValuA_X5_I0_D2+1], s[sgprPackKForV1] // select K=23 for vector=1
v_mfma_f32_16x16x16_bf16 a[8+0:11+0], v[vgprValuB_X1_I0+0+0+0:vgprValuB_X1_I0+0+0+0+1], v[vgprValuA_X5_I0+4+0+0:vgprValuA_X5_I0+4+0+0+1], a[8:11]
/*  mfmaIndex:67  */
_ds_load_b64 v[vgprValuB_X0_I0+6:vgprValuB_X0_I0+6+1], v[vgprLocalReadAddrB] offset:4416 // L -> Reg lro=32 swapByteOffset=0 ti=32 vIdx=1 rIdx=0 oIdx=0 buffer=0 iui=0
v_mfma_f32_16x16x16_bf16 a[12+0:15+0], v[vgprValuB_X1_I0+0+0+0:vgprValuB_X1_I0+0+0+0+1], v[vgprValuA_X5_I0+6+0+0:vgprValuA_X5_I0+6+0+0+1], a[12:15]
/*  mfmaIndex:68  */
_ds_load_b64 v[vgprValuB_X0_I0+8:vgprValuB_X0_I0+8+1], v[vgprLocalReadAddrB] offset:8512 // L -> Reg lro=32 swapByteOffset=0 ti=32 vIdx=2 rIdx=0 oIdx=0 buffer=0 iui=0
	;; [unrolled: 3-line block ×13, first 2 shown]
v_mfma_f32_16x16x16_bf16 a[48+0:51+0], v[vgprValuB_X1_I0+6+0+0:vgprValuB_X1_I0+6+0+0+1], v[vgprValuA_X5_I0+0+0+0:vgprValuA_X5_I0+0+0+0+1], a[48:51]
/*  mfmaIndex:80  */
/* localReadsVacancy: latencyLeft 2 */
v_mfma_f32_16x16x16_bf16 a[64+0:67+0], v[vgprValuB_X1_I0+8+0+0:vgprValuB_X1_I0+8+0+0+1], v[vgprValuA_X5_I0+0+0+0:vgprValuA_X5_I0+0+0+0+1], a[64:67]
/*  mfmaIndex:81  */
/* localReadsVacancy: latencyLeft 2 */
	;; [unrolled: 3-line block ×48, first 2 shown]
v_mfma_f32_16x16x16_bf16 a[240+0:243+0], v[vgprValuB_X1_I0+30+0+0:vgprValuB_X1_I0+30+0+0+1], v[vgprValuA_X5_I0+0+0+0:vgprValuA_X5_I0+0+0+0+1], a[240:243]
s_setprio 0                                        // store optimization
/* numPrefetchIter=0 */
/* dataAtIterA=0 numReadsIterA=2 skipReadsIterA=1 readsPerIterA=1 */
/* dataAtIterB=0 numReadsIterB=2 skipReadsIterB=1 readsPerIterB=16 */


/* iter 2 (last unrolled loop) */

s_waitcnt vmcnt(4)                                 // lgkmcnt=-1 vmcnt=4global read wait for DirectToVgpr

/*  grEndMfmaIndex:0, lwStartMfmaIndex:228, lwEndMfmaIndex:228  */
/*  numMfmaForLR:21, barrierMfmaIndex:234 */
/*  mfmaIndex:128  */
_ds_load_b64 v[vgprValuB_X1_I0+0:vgprValuB_X1_I0+0+1], v[vgprLocalReadAddrB] offset:96 // L -> Reg lro=48 swapByteOffset=0 ti=32 vIdx=0 rIdx=0 oIdx=0 buffer=1 iui=0
s_waitcnt lgkmcnt(1)                               // lgkmcnt=0 vmcnt=-1wait for prior local read local write old=0, new=1 newLW=0 newLR=1
/* pack scheduling: packAIdx:2, packBIdx:0 */
v_perm_b32 v[vgprValuA_X6_I0+0], v[vgprValuA_X6_I0_D1+0], v[vgprValuA_X6_I0_D0+0], s[sgprPackKForV0] // select K=01 for vector=0
v_perm_b32 v[vgprValuA_X6_I0+1], v[vgprValuA_X6_I0_D3+0], v[vgprValuA_X6_I0_D2+0], s[sgprPackKForV0] // select K=23 for vector=0
v_perm_b32 v[vgprValuA_X6_I0+2], v[vgprValuA_X6_I0_D1+0], v[vgprValuA_X6_I0_D0+0], s[sgprPackKForV1] // select K=01 for vector=1
v_perm_b32 v[vgprValuA_X6_I0+3], v[vgprValuA_X6_I0_D3+0], v[vgprValuA_X6_I0_D2+0], s[sgprPackKForV1] // select K=23 for vector=1
v_mfma_f32_16x16x16_bf16 a[0+0:3+0], v[vgprValuB_X0_I0+0+0+0:vgprValuB_X0_I0+0+0+0+1], v[vgprValuA_X6_I0+0+0+0:vgprValuA_X6_I0+0+0+0+1], a[0:3]
/*  mfmaIndex:129  */
_ds_load_b64 v[vgprValuB_X1_I0+2:vgprValuB_X1_I0+2+1], v[vgprLocalReadAddrB] offset:224 // L -> Reg lro=48 swapByteOffset=0 ti=32 vIdx=0 rIdx=0 oIdx=0 buffer=1 iui=0
/* pack scheduling: packAIdx:4, packBIdx:0 */
v_perm_b32 v[vgprValuA_X6_I0+4], v[vgprValuA_X6_I0_D1+1], v[vgprValuA_X6_I0_D0+1], s[sgprPackKForV0] // select K=01 for vector=0
v_perm_b32 v[vgprValuA_X6_I0+5], v[vgprValuA_X6_I0_D3+1], v[vgprValuA_X6_I0_D2+1], s[sgprPackKForV0] // select K=23 for vector=0
v_mfma_f32_16x16x16_bf16 a[4+0:7+0], v[vgprValuB_X0_I0+0+0+0:vgprValuB_X0_I0+0+0+0+1], v[vgprValuA_X6_I0+2+0+0:vgprValuA_X6_I0+2+0+0+1], a[4:7]
/*  mfmaIndex:130  */
_ds_load_b64 v[vgprValuB_X1_I0+4:vgprValuB_X1_I0+4+1], v[vgprLocalReadAddrB] offset:4320 // L -> Reg lro=48 swapByteOffset=0 ti=32 vIdx=1 rIdx=0 oIdx=0 buffer=1 iui=0
/* pack scheduling: packAIdx:6, packBIdx:0 */
v_perm_b32 v[vgprValuA_X6_I0+6], v[vgprValuA_X6_I0_D1+1], v[vgprValuA_X6_I0_D0+1], s[sgprPackKForV1] // select K=01 for vector=1
v_perm_b32 v[vgprValuA_X6_I0+7], v[vgprValuA_X6_I0_D3+1], v[vgprValuA_X6_I0_D2+1], s[sgprPackKForV1] // select K=23 for vector=1
v_mfma_f32_16x16x16_bf16 a[8+0:11+0], v[vgprValuB_X0_I0+0+0+0:vgprValuB_X0_I0+0+0+0+1], v[vgprValuA_X6_I0+4+0+0:vgprValuA_X6_I0+4+0+0+1], a[8:11]
/*  mfmaIndex:131  */
_ds_load_b64 v[vgprValuB_X1_I0+6:vgprValuB_X1_I0+6+1], v[vgprLocalReadAddrB] offset:4448 // L -> Reg lro=48 swapByteOffset=0 ti=32 vIdx=1 rIdx=0 oIdx=0 buffer=1 iui=0
v_mfma_f32_16x16x16_bf16 a[12+0:15+0], v[vgprValuB_X0_I0+0+0+0:vgprValuB_X0_I0+0+0+0+1], v[vgprValuA_X6_I0+6+0+0:vgprValuA_X6_I0+6+0+0+1], a[12:15]
/*  mfmaIndex:132  */
_ds_load_b64 v[vgprValuB_X1_I0+8:vgprValuB_X1_I0+8+1], v[vgprLocalReadAddrB] offset:8544 // L -> Reg lro=48 swapByteOffset=0 ti=32 vIdx=2 rIdx=0 oIdx=0 buffer=1 iui=0
	;; [unrolled: 3-line block ×13, first 2 shown]
v_mfma_f32_16x16x16_bf16 a[48+0:51+0], v[vgprValuB_X0_I0+6+0+0:vgprValuB_X0_I0+6+0+0+1], v[vgprValuA_X6_I0+0+0+0:vgprValuA_X6_I0+0+0+0+1], a[48:51]
/*  mfmaIndex:144  */
/* localReadsVacancy: latencyLeft 2 */
v_mfma_f32_16x16x16_bf16 a[64+0:67+0], v[vgprValuB_X0_I0+8+0+0:vgprValuB_X0_I0+8+0+0+1], v[vgprValuA_X6_I0+0+0+0:vgprValuA_X6_I0+0+0+0+1], a[64:67]
/*  mfmaIndex:145  */
/* localReadsVacancy: latencyLeft 2 */
	;; [unrolled: 3-line block ×48, first 2 shown]
v_mfma_f32_16x16x16_bf16 a[240+0:243+0], v[vgprValuB_X0_I0+30+0+0:vgprValuB_X0_I0+30+0+0+1], v[vgprValuA_X6_I0+0+0+0:vgprValuA_X6_I0+0+0+0+1], a[240:243]
/* numPrefetchIter=0 */
/* dataAtIterA=1 numReadsIterA=3 skipReadsIterA=1 readsPerIterA=1 */
/* dataAtIterB=1 numReadsIterB=3 skipReadsIterB=1 readsPerIterB=16 */


/* iter 3 (last unrolled loop) */

s_waitcnt vmcnt(0)                                 // lgkmcnt=-1 vmcnt=0global read wait for DirectToVgpr

/*  grEndMfmaIndex:0, lwStartMfmaIndex:228, lwEndMfmaIndex:228  */
/*  numMfmaForLR:21, barrierMfmaIndex:234 */
/*  mfmaIndex:192  */
s_waitcnt lgkmcnt(0)                               // lgkmcnt=0 vmcnt=-1wait for prior local read local write old=0, new=0 newLW=0 newLR=0
/* pack scheduling: packAIdx:2, packBIdx:0 */
v_perm_b32 v[vgprValuA_X7_I0+0], v[vgprValuA_X7_I0_D1+0], v[vgprValuA_X7_I0_D0+0], s[sgprPackKForV0] // select K=01 for vector=0
v_perm_b32 v[vgprValuA_X7_I0+1], v[vgprValuA_X7_I0_D3+0], v[vgprValuA_X7_I0_D2+0], s[sgprPackKForV0] // select K=23 for vector=0
v_perm_b32 v[vgprValuA_X7_I0+2], v[vgprValuA_X7_I0_D1+0], v[vgprValuA_X7_I0_D0+0], s[sgprPackKForV1] // select K=01 for vector=1
v_perm_b32 v[vgprValuA_X7_I0+3], v[vgprValuA_X7_I0_D3+0], v[vgprValuA_X7_I0_D2+0], s[sgprPackKForV1] // select K=23 for vector=1
v_mfma_f32_16x16x16_bf16 a[0+0:3+0], v[vgprValuB_X1_I0+0+0+0:vgprValuB_X1_I0+0+0+0+1], v[vgprValuA_X7_I0+0+0+0:vgprValuA_X7_I0+0+0+0+1], a[0:3]
/*  mfmaIndex:193  */
/* pack scheduling: packAIdx:4, packBIdx:0 */
v_perm_b32 v[vgprValuA_X7_I0+4], v[vgprValuA_X7_I0_D1+1], v[vgprValuA_X7_I0_D0+1], s[sgprPackKForV0] // select K=01 for vector=0
v_perm_b32 v[vgprValuA_X7_I0+5], v[vgprValuA_X7_I0_D3+1], v[vgprValuA_X7_I0_D2+1], s[sgprPackKForV0] // select K=23 for vector=0
v_mfma_f32_16x16x16_bf16 a[4+0:7+0], v[vgprValuB_X1_I0+0+0+0:vgprValuB_X1_I0+0+0+0+1], v[vgprValuA_X7_I0+2+0+0:vgprValuA_X7_I0+2+0+0+1], a[4:7]
/*  mfmaIndex:194  */
/* pack scheduling: packAIdx:6, packBIdx:0 */
v_perm_b32 v[vgprValuA_X7_I0+6], v[vgprValuA_X7_I0_D1+1], v[vgprValuA_X7_I0_D0+1], s[sgprPackKForV1] // select K=01 for vector=1
v_perm_b32 v[vgprValuA_X7_I0+7], v[vgprValuA_X7_I0_D3+1], v[vgprValuA_X7_I0_D2+1], s[sgprPackKForV1] // select K=23 for vector=1
v_mfma_f32_16x16x16_bf16 a[8+0:11+0], v[vgprValuB_X1_I0+0+0+0:vgprValuB_X1_I0+0+0+0+1], v[vgprValuA_X7_I0+4+0+0:vgprValuA_X7_I0+4+0+0+1], a[8:11]
/*  mfmaIndex:195  */
v_mfma_f32_16x16x16_bf16 a[12+0:15+0], v[vgprValuB_X1_I0+0+0+0:vgprValuB_X1_I0+0+0+0+1], v[vgprValuA_X7_I0+6+0+0:vgprValuA_X7_I0+6+0+0+1], a[12:15]
/*  mfmaIndex:196  */
	;; [unrolled: 2-line block ×33, first 2 shown]
/* 1 LDS buffer: read-sync-write */
s_waitcnt lgkmcnt(0)                               // 
s_barrier                                          // 
v_mfma_f32_16x16x16_bf16 a[140+0:143+0], v[vgprValuB_X1_I0+16+0+0:vgprValuB_X1_I0+16+0+0+1], v[vgprValuA_X7_I0+6+0+0:vgprValuA_X7_I0+6+0+0+1], a[140:143]
/*  mfmaIndex:228  */
v_mfma_f32_16x16x16_bf16 a[156+0:159+0], v[vgprValuB_X1_I0+18+0+0:vgprValuB_X1_I0+18+0+0+1], v[vgprValuA_X7_I0+6+0+0:vgprValuA_X7_I0+6+0+0+1], a[156:159]
/*  mfmaIndex:229  */
	;; [unrolled: 2-line block ×28, first 2 shown]
v_mfma_f32_16x16x16_bf16 a[240+0:243+0], v[vgprValuB_X1_I0+30+0+0:vgprValuB_X1_I0+30+0+0+1], v[vgprValuA_X7_I0+0+0+0:vgprValuA_X7_I0+0+0+0+1], a[240:243]
/* numPrefetchIter=0 */
/* dataAtIterA=2 numReadsIterA=3 skipReadsIterA=0 readsPerIterA=1 */
/* dataAtIterB=2 numReadsIterB=3 skipReadsIterB=0 readsPerIterB=16 */

label_0029: // EvenEndNoLoadLoopOrd 

PrefetchGlobalLastIterEnd_5:


/******************************************/
/* Tail Loop                              */
/******************************************/


/* local write reset offsets a */


	;; [unrolled: 1-line block ×4, first 2 shown]
/* local write reset offsets b */


	;; [unrolled: 1-line block ×4, first 2 shown]
//numIterL = (((sizeL % LOCAL_DEPTHU) + LOCAL_SPLITU - 1) / LOCAL_SPLITU)
s_and_b32 s[sgprLoopCounterL], 63, s[sgprSizesSum+0] // s[sgprLoopCounterL] = s[sgprSizesSum+0] % 64
s_cmp_eq_u32 s[sgprLoopCounterL], 0x0              // numIterL == 0
s_cbranch_scc1 SkipTailLoopL_8                     // skip to end of tail loop b/c numIter==0
s_mov_b32 s[sgprOrigLoopCounter], 0                // repurpose to count each localRead increment


/* Update M0 for DTLDS */



/* global read b */

/* g2l=0, load component 0 */
_buffer_load_d16_b16 v[vgprG2LB+0+0], v[vgprGlobalReadOffsetB+0], s[sgprSrdB:sgprSrdB+3], 0, offen offset:0 // load one buffer value
/* g2l=0, load component 1 */
_buffer_load_d16_hi_b16 v220, v[vgprGlobalReadOffsetB+0], s[sgprSrdB:sgprSrdB+3], 0, offen offset:2 // load one buffer value
s_waitcnt vmcnt(0)
v_or_b32 v[vgprG2LB+0+0], v[vgprG2LB+0+0], v220 // HasEccHalf: pack
/* g2l=1, load component 0 */
_buffer_load_d16_b16 v[vgprG2LB+1+0], v[vgprGlobalReadOffsetB+1], s[sgprSrdB:sgprSrdB+3], 0, offen offset:0 // load one buffer value
/* g2l=1, load component 1 */
_buffer_load_d16_hi_b16 v220, v[vgprGlobalReadOffsetB+1], s[sgprSrdB:sgprSrdB+3], 0, offen offset:2 // load one buffer value
s_waitcnt vmcnt(0)
v_or_b32 v[vgprG2LB+1+0], v[vgprG2LB+1+0], v220 // HasEccHalf: pack
	;; [unrolled: 6-line block ×32, first 2 shown]


/* Update M0 for DTLDS */


	;; [unrolled: 1-line block ×3, first 2 shown]
/* global read a */

/* g2l=0, load component 0 */
_buffer_load_d16_b16 v[vgprG2LA+0+0], v[vgprGlobalReadOffsetA+0], s[sgprSrdA:sgprSrdA+3], 0, offen offset:0 // load one buffer value
/* g2l=0, load component 1 */
_buffer_load_d16_hi_b16 v220, v[vgprGlobalReadOffsetA+0], s[sgprSrdA:sgprSrdA+3], 0, offen offset:2 // load one buffer value
s_waitcnt vmcnt(0)
v_or_b32 v[vgprG2LA+0+0], v[vgprG2LA+0+0], v220 // HasEccHalf: pack
/* g2l=0, load component 2 */
_buffer_load_d16_b16 v[vgprG2LA+0+1], v[vgprGlobalReadOffsetA+0], s[sgprSrdA:sgprSrdA+3], 0, offen offset:4 // load one buffer value
/* g2l=0, load component 3 */
_buffer_load_d16_hi_b16 v220, v[vgprGlobalReadOffsetA+0], s[sgprSrdA:sgprSrdA+3], 0, offen offset:6 // load one buffer value
s_waitcnt vmcnt(0)
v_or_b32 v[vgprG2LA+0+1], v[vgprG2LA+0+1], v220 // HasEccHalf: pack
	;; [unrolled: 6-line block ×32, first 2 shown]

s_waitcnt vmcnt(0)                                 // lgkmcnt=-1 vmcnt=02wait for global read

s_waitcnt lgkmcnt(0) & vmcnt(0)                    // force waitcnt0
s_barrier //


/* Done global A/B reads */


	;; [unrolled: 1-line block ×4, first 2 shown]
/* local write a */


	;; [unrolled: 1-line block ×3, first 2 shown]
/* local write b */

_ds_store_b32 v[vgprLocalWriteAddrB], v[vgprG2LB+0] offset:0 // lwoB_0_0_0_0 = (0*LSCB)*(MT1J+PAD) + (0*LSPB) = 0
_ds_store_b32 v[vgprLocalWriteAddrB], v[vgprG2LB+1] offset:1056 // lwoB_0_0_1_0 = (0*LSCB)*(MT1J+PAD) + (1*LSPB) = 1056
_ds_store_b32 v[vgprLocalWriteAddrB], v[vgprG2LB+2] offset:2112 // lwoB_0_0_2_0 = (0*LSCB)*(MT1J+PAD) + (2*LSPB) = 2112
_ds_store_b32 v[vgprLocalWriteAddrB], v[vgprG2LB+3] offset:3168 // lwoB_0_0_3_0 = (0*LSCB)*(MT1J+PAD) + (3*LSPB) = 3168
_ds_store_b32 v[vgprLocalWriteAddrB], v[vgprG2LB+4] offset:4224 // lwoB_0_0_4_0 = (0*LSCB)*(MT1J+PAD) + (4*LSPB) = 4224
_ds_store_b32 v[vgprLocalWriteAddrB], v[vgprG2LB+5] offset:5280 // lwoB_0_0_5_0 = (0*LSCB)*(MT1J+PAD) + (5*LSPB) = 5280
_ds_store_b32 v[vgprLocalWriteAddrB], v[vgprG2LB+6] offset:6336 // lwoB_0_0_6_0 = (0*LSCB)*(MT1J+PAD) + (6*LSPB) = 6336
_ds_store_b32 v[vgprLocalWriteAddrB], v[vgprG2LB+7] offset:7392 // lwoB_0_0_7_0 = (0*LSCB)*(MT1J+PAD) + (7*LSPB) = 7392
_ds_store_b32 v[vgprLocalWriteAddrB], v[vgprG2LB+8] offset:8448 // lwoB_0_0_8_0 = (0*LSCB)*(MT1J+PAD) + (8*LSPB) = 8448
_ds_store_b32 v[vgprLocalWriteAddrB], v[vgprG2LB+9] offset:9504 // lwoB_0_0_9_0 = (0*LSCB)*(MT1J+PAD) + (9*LSPB) = 9504
_ds_store_b32 v[vgprLocalWriteAddrB], v[vgprG2LB+10] offset:10560 // lwoB_0_0_10_0 = (0*LSCB)*(MT1J+PAD) + (10*LSPB) = 10560
_ds_store_b32 v[vgprLocalWriteAddrB], v[vgprG2LB+11] offset:11616 // lwoB_0_0_11_0 = (0*LSCB)*(MT1J+PAD) + (11*LSPB) = 11616
_ds_store_b32 v[vgprLocalWriteAddrB], v[vgprG2LB+12] offset:12672 // lwoB_0_0_12_0 = (0*LSCB)*(MT1J+PAD) + (12*LSPB) = 12672
_ds_store_b32 v[vgprLocalWriteAddrB], v[vgprG2LB+13] offset:13728 // lwoB_0_0_13_0 = (0*LSCB)*(MT1J+PAD) + (13*LSPB) = 13728
_ds_store_b32 v[vgprLocalWriteAddrB], v[vgprG2LB+14] offset:14784 // lwoB_0_0_14_0 = (0*LSCB)*(MT1J+PAD) + (14*LSPB) = 14784
_ds_store_b32 v[vgprLocalWriteAddrB], v[vgprG2LB+15] offset:15840 // lwoB_0_0_15_0 = (0*LSCB)*(MT1J+PAD) + (15*LSPB) = 15840
_ds_store_b32 v[vgprLocalWriteAddrB], v[vgprG2LB+16] offset:16896 // lwoB_0_0_16_0 = (0*LSCB)*(MT1J+PAD) + (16*LSPB) = 16896
_ds_store_b32 v[vgprLocalWriteAddrB], v[vgprG2LB+17] offset:17952 // lwoB_0_0_17_0 = (0*LSCB)*(MT1J+PAD) + (17*LSPB) = 17952
_ds_store_b32 v[vgprLocalWriteAddrB], v[vgprG2LB+18] offset:19008 // lwoB_0_0_18_0 = (0*LSCB)*(MT1J+PAD) + (18*LSPB) = 19008
_ds_store_b32 v[vgprLocalWriteAddrB], v[vgprG2LB+19] offset:20064 // lwoB_0_0_19_0 = (0*LSCB)*(MT1J+PAD) + (19*LSPB) = 20064
_ds_store_b32 v[vgprLocalWriteAddrB], v[vgprG2LB+20] offset:21120 // lwoB_0_0_20_0 = (0*LSCB)*(MT1J+PAD) + (20*LSPB) = 21120
_ds_store_b32 v[vgprLocalWriteAddrB], v[vgprG2LB+21] offset:22176 // lwoB_0_0_21_0 = (0*LSCB)*(MT1J+PAD) + (21*LSPB) = 22176
_ds_store_b32 v[vgprLocalWriteAddrB], v[vgprG2LB+22] offset:23232 // lwoB_0_0_22_0 = (0*LSCB)*(MT1J+PAD) + (22*LSPB) = 23232
_ds_store_b32 v[vgprLocalWriteAddrB], v[vgprG2LB+23] offset:24288 // lwoB_0_0_23_0 = (0*LSCB)*(MT1J+PAD) + (23*LSPB) = 24288
_ds_store_b32 v[vgprLocalWriteAddrB], v[vgprG2LB+24] offset:25344 // lwoB_0_0_24_0 = (0*LSCB)*(MT1J+PAD) + (24*LSPB) = 25344
_ds_store_b32 v[vgprLocalWriteAddrB], v[vgprG2LB+25] offset:26400 // lwoB_0_0_25_0 = (0*LSCB)*(MT1J+PAD) + (25*LSPB) = 26400
_ds_store_b32 v[vgprLocalWriteAddrB], v[vgprG2LB+26] offset:27456 // lwoB_0_0_26_0 = (0*LSCB)*(MT1J+PAD) + (26*LSPB) = 27456
_ds_store_b32 v[vgprLocalWriteAddrB], v[vgprG2LB+27] offset:28512 // lwoB_0_0_27_0 = (0*LSCB)*(MT1J+PAD) + (27*LSPB) = 28512
_ds_store_b32 v[vgprLocalWriteAddrB], v[vgprG2LB+28] offset:29568 // lwoB_0_0_28_0 = (0*LSCB)*(MT1J+PAD) + (28*LSPB) = 29568
_ds_store_b32 v[vgprLocalWriteAddrB], v[vgprG2LB+29] offset:30624 // lwoB_0_0_29_0 = (0*LSCB)*(MT1J+PAD) + (29*LSPB) = 30624
_ds_store_b32 v[vgprLocalWriteAddrB], v[vgprG2LB+30] offset:31680 // lwoB_0_0_30_0 = (0*LSCB)*(MT1J+PAD) + (30*LSPB) = 31680
_ds_store_b32 v[vgprLocalWriteAddrB], v[vgprG2LB+31] offset:32736 // lwoB_0_0_31_0 = (0*LSCB)*(MT1J+PAD) + (31*LSPB) = 32736

s_waitcnt lgkmcnt(0)                               // lgkmcnt=0 vmcnt=-15wait for local write

s_waitcnt lgkmcnt(0) & vmcnt(0)                    // force waitcnt0
s_barrier //


/* local read reset offsets a */


	;; [unrolled: 1-line block ×3, first 2 shown]
/* local read reset offsets b */


	;; [unrolled: 1-line block ×3, first 2 shown]
/* local read init pointers a */


	;; [unrolled: 1-line block ×3, first 2 shown]
/* local read init pointers b */


/* localReadInitPointers */


/* tail loop: macs */

TailLoopBeginL_6:


/* tail loop unroll iter 0 */


/* local read a */


	;; [unrolled: 1-line block ×3, first 2 shown]
/* local read b */

_ds_load_b64 v[vgprValuB_X0_I0+0:vgprValuB_X0_I0+0+1], v[vgprLocalReadAddrB] offset:0 // L -> Reg lro=0 swapByteOffset=0 ti=32 vIdx=0 rIdx=0 oIdx=0 buffer=0 iui=0
_ds_load_b64 v[vgprValuB_X0_I0+2:vgprValuB_X0_I0+2+1], v[vgprLocalReadAddrB] offset:128 // L -> Reg lro=0 swapByteOffset=0 ti=32 vIdx=0 rIdx=0 oIdx=0 buffer=0 iui=0
	;; [unrolled: 1-line block ×16, first 2 shown]


/* local read inc a */


	;; [unrolled: 1-line block ×3, first 2 shown]
/* local read inc b */

s_mov_b32 s33, 0x20                                // inc
_v_add_co_u32 v[vgprLocalReadAddrB], vcc, s33, v[vgprLocalReadAddrB] // lrB += 32 (LSU*bpe)

s_waitcnt lgkmcnt(0)                               // lgkmcnt=0 vmcnt=-14wait for local read

v_perm_b32 v[vgprValuA_X0_I0+0], v[vgprValuA_X0_I0_D1+0], v[vgprValuA_X0_I0_D0+0], s[sgprPackKForV0] // select K=01 for vector=0
v_perm_b32 v[vgprValuA_X0_I0+1], v[vgprValuA_X0_I0_D3+0], v[vgprValuA_X0_I0_D2+0], s[sgprPackKForV0] // select K=23 for vector=0
v_perm_b32 v[vgprValuA_X0_I0+2], v[vgprValuA_X0_I0_D1+0], v[vgprValuA_X0_I0_D0+0], s[sgprPackKForV1] // select K=01 for vector=1
v_perm_b32 v[vgprValuA_X0_I0+3], v[vgprValuA_X0_I0_D3+0], v[vgprValuA_X0_I0_D2+0], s[sgprPackKForV1] // select K=23 for vector=1
v_perm_b32 v[vgprValuA_X0_I0+4], v[vgprValuA_X0_I0_D1+1], v[vgprValuA_X0_I0_D0+1], s[sgprPackKForV0] // select K=01 for vector=0
v_perm_b32 v[vgprValuA_X0_I0+5], v[vgprValuA_X0_I0_D3+1], v[vgprValuA_X0_I0_D2+1], s[sgprPackKForV0] // select K=23 for vector=0
v_perm_b32 v[vgprValuA_X0_I0+6], v[vgprValuA_X0_I0_D1+1], v[vgprValuA_X0_I0_D0+1], s[sgprPackKForV1] // select K=01 for vector=1
v_perm_b32 v[vgprValuA_X0_I0+7], v[vgprValuA_X0_I0_D3+1], v[vgprValuA_X0_I0_D2+1], s[sgprPackKForV1] // select K=23 for vector=1


/* tail loop mfma iter 0: numReadsIterCoalescedA=1, numReadsIterCoalescedB=1 */
v_and_b32 v220, 63, v[vgprSerial]                  // v220 = v[vgprSerial] % 64
v_lshrrev_b32 v220, 4, v220                        // v220 = v220 / 16
v_lshlrev_b32 v220, 0x2, v220                      // v220 = v220 * 4
v_cmp_ge_i32 s[56:57], v220, s[sgprLoopCounterL]   // check K index >= Size L
v_cndmask_b32 v[vgprValuB_X0_I0+0+0+0+0], v[vgprValuB_X0_I0+0+0+0+0], 0x0, s[56:57] // set 0 if K_idx >= sizeL
v_cndmask_b32 v[vgprValuB_X0_I0+2+0+0+0], v[vgprValuB_X0_I0+2+0+0+0], 0x0, s[56:57] // set 0 if K_idx >= sizeL
	;; [unrolled: 1-line block ×32, first 2 shown]
_v_sub_u32 v220, s[sgprLoopCounterL], v220         // get distance between size and k index
v_cmp_lt_i32 s[56:57], v220, 4                     // set partial 0 if distance less than input per thread
s_and_b32 s58, s[sgprLoopCounterL], 3              // get inputs for edge thread
s_sub_u32 s58, 4, s58                              // use shift to fill 0 for outside element
s_lshl_b32 s58, s58, 4                             // use shift to fill 0 for outside element
v_mov_b32 v222, -1                                 // set 0xffffffff
v_mov_b32 v223, -1                                 // set 0xffffffff
v_lshrrev_b64 v[222:223], s58, v[222:223]          // rshift mask for partial k
v_cndmask_b32 v222, -1, v222, s[56:57]             // select shifted mask for partial k
v_cndmask_b32 v223, -1, v223, s[56:57]             // select shifted mask for partial k
v_and_b32 v[vgprValuB_X0_I0+0+0+0+0], v[vgprValuB_X0_I0+0+0+0+0], v222 // 
v_and_b32 v[vgprValuB_X0_I0+0+0+0+1], v[vgprValuB_X0_I0+0+0+0+1], v223 // 
v_and_b32 v[vgprValuB_X0_I0+2+0+0+0], v[vgprValuB_X0_I0+2+0+0+0], v222 // 
v_and_b32 v[vgprValuB_X0_I0+2+0+0+1], v[vgprValuB_X0_I0+2+0+0+1], v223 // 
v_and_b32 v[vgprValuB_X0_I0+4+0+0+0], v[vgprValuB_X0_I0+4+0+0+0], v222 // 
v_and_b32 v[vgprValuB_X0_I0+4+0+0+1], v[vgprValuB_X0_I0+4+0+0+1], v223 // 
v_and_b32 v[vgprValuB_X0_I0+6+0+0+0], v[vgprValuB_X0_I0+6+0+0+0], v222 // 
v_and_b32 v[vgprValuB_X0_I0+6+0+0+1], v[vgprValuB_X0_I0+6+0+0+1], v223 // 
v_and_b32 v[vgprValuB_X0_I0+8+0+0+0], v[vgprValuB_X0_I0+8+0+0+0], v222 // 
v_and_b32 v[vgprValuB_X0_I0+8+0+0+1], v[vgprValuB_X0_I0+8+0+0+1], v223 // 
v_and_b32 v[vgprValuB_X0_I0+10+0+0+0], v[vgprValuB_X0_I0+10+0+0+0], v222 // 
v_and_b32 v[vgprValuB_X0_I0+10+0+0+1], v[vgprValuB_X0_I0+10+0+0+1], v223 // 
v_and_b32 v[vgprValuB_X0_I0+12+0+0+0], v[vgprValuB_X0_I0+12+0+0+0], v222 // 
v_and_b32 v[vgprValuB_X0_I0+12+0+0+1], v[vgprValuB_X0_I0+12+0+0+1], v223 // 
v_and_b32 v[vgprValuB_X0_I0+14+0+0+0], v[vgprValuB_X0_I0+14+0+0+0], v222 // 
v_and_b32 v[vgprValuB_X0_I0+14+0+0+1], v[vgprValuB_X0_I0+14+0+0+1], v223 // 
v_and_b32 v[vgprValuB_X0_I0+16+0+0+0], v[vgprValuB_X0_I0+16+0+0+0], v222 // 
v_and_b32 v[vgprValuB_X0_I0+16+0+0+1], v[vgprValuB_X0_I0+16+0+0+1], v223 // 
v_and_b32 v[vgprValuB_X0_I0+18+0+0+0], v[vgprValuB_X0_I0+18+0+0+0], v222 // 
v_and_b32 v[vgprValuB_X0_I0+18+0+0+1], v[vgprValuB_X0_I0+18+0+0+1], v223 // 
v_and_b32 v[vgprValuB_X0_I0+20+0+0+0], v[vgprValuB_X0_I0+20+0+0+0], v222 // 
v_and_b32 v[vgprValuB_X0_I0+20+0+0+1], v[vgprValuB_X0_I0+20+0+0+1], v223 // 
v_and_b32 v[vgprValuB_X0_I0+22+0+0+0], v[vgprValuB_X0_I0+22+0+0+0], v222 // 
v_and_b32 v[vgprValuB_X0_I0+22+0+0+1], v[vgprValuB_X0_I0+22+0+0+1], v223 // 
v_and_b32 v[vgprValuB_X0_I0+24+0+0+0], v[vgprValuB_X0_I0+24+0+0+0], v222 // 
v_and_b32 v[vgprValuB_X0_I0+24+0+0+1], v[vgprValuB_X0_I0+24+0+0+1], v223 // 
v_and_b32 v[vgprValuB_X0_I0+26+0+0+0], v[vgprValuB_X0_I0+26+0+0+0], v222 // 
v_and_b32 v[vgprValuB_X0_I0+26+0+0+1], v[vgprValuB_X0_I0+26+0+0+1], v223 // 
v_and_b32 v[vgprValuB_X0_I0+28+0+0+0], v[vgprValuB_X0_I0+28+0+0+0], v222 // 
v_and_b32 v[vgprValuB_X0_I0+28+0+0+1], v[vgprValuB_X0_I0+28+0+0+1], v223 // 
v_and_b32 v[vgprValuB_X0_I0+30+0+0+0], v[vgprValuB_X0_I0+30+0+0+0], v222 // 
v_and_b32 v[vgprValuB_X0_I0+30+0+0+1], v[vgprValuB_X0_I0+30+0+0+1], v223 // 
s_nop 1
v_mfma_f32_16x16x16_bf16 a[0+0:3+0], v[vgprValuB_X0_I0+0+0+0:vgprValuB_X0_I0+0+0+0+1], v[vgprValuA_X0_I0+0+0+0:vgprValuA_X0_I0+0+0+0+1], a[0:3]
v_mfma_f32_16x16x16_bf16 a[4+0:7+0], v[vgprValuB_X0_I0+0+0+0:vgprValuB_X0_I0+0+0+0+1], v[vgprValuA_X0_I0+2+0+0:vgprValuA_X0_I0+2+0+0+1], a[4:7]
	;; [unrolled: 1-line block ×64, first 2 shown]


/* closeLoop loopL finalLoop=0 tailLoop=1 */
s_sub_i32 s[sgprLoopCounterL], s[sgprLoopCounterL], 0x10 // dec counterL (tailLoop)
s_add_u32 s[sgprOrigLoopCounter], s[sgprOrigLoopCounter], 0x10 // inc counterL
s_cmp_le_i32 s[sgprLoopCounterL], 0x0              // counterL<=0
s_cbranch_scc1 TailLoopEndL_7                      // exit LoopL


/* tail loop unroll iter 1 */


/* local read a */


	;; [unrolled: 1-line block ×3, first 2 shown]
/* local read b */

_ds_load_b64 v[vgprValuB_X1_I0+0:vgprValuB_X1_I0+0+1], v[vgprLocalReadAddrB] offset:0 // L -> Reg lro=0 swapByteOffset=0 ti=32 vIdx=0 rIdx=0 oIdx=0 buffer=1 iui=0
_ds_load_b64 v[vgprValuB_X1_I0+2:vgprValuB_X1_I0+2+1], v[vgprLocalReadAddrB] offset:128 // L -> Reg lro=0 swapByteOffset=0 ti=32 vIdx=0 rIdx=0 oIdx=0 buffer=1 iui=0
	;; [unrolled: 1-line block ×16, first 2 shown]


/* local read inc a */


	;; [unrolled: 1-line block ×3, first 2 shown]
/* local read inc b */

s_mov_b32 s33, 0x20                                // inc
_v_add_co_u32 v[vgprLocalReadAddrB], vcc, s33, v[vgprLocalReadAddrB] // lrB += 32 (LSU*bpe)

s_waitcnt lgkmcnt(0)                               // lgkmcnt=0 vmcnt=-14wait for local read

v_perm_b32 v[vgprValuA_X1_I0+0], v[vgprValuA_X1_I0_D1+0], v[vgprValuA_X1_I0_D0+0], s[sgprPackKForV0] // select K=01 for vector=0
v_perm_b32 v[vgprValuA_X1_I0+1], v[vgprValuA_X1_I0_D3+0], v[vgprValuA_X1_I0_D2+0], s[sgprPackKForV0] // select K=23 for vector=0
v_perm_b32 v[vgprValuA_X1_I0+2], v[vgprValuA_X1_I0_D1+0], v[vgprValuA_X1_I0_D0+0], s[sgprPackKForV1] // select K=01 for vector=1
v_perm_b32 v[vgprValuA_X1_I0+3], v[vgprValuA_X1_I0_D3+0], v[vgprValuA_X1_I0_D2+0], s[sgprPackKForV1] // select K=23 for vector=1
v_perm_b32 v[vgprValuA_X1_I0+4], v[vgprValuA_X1_I0_D1+1], v[vgprValuA_X1_I0_D0+1], s[sgprPackKForV0] // select K=01 for vector=0
v_perm_b32 v[vgprValuA_X1_I0+5], v[vgprValuA_X1_I0_D3+1], v[vgprValuA_X1_I0_D2+1], s[sgprPackKForV0] // select K=23 for vector=0
v_perm_b32 v[vgprValuA_X1_I0+6], v[vgprValuA_X1_I0_D1+1], v[vgprValuA_X1_I0_D0+1], s[sgprPackKForV1] // select K=01 for vector=1
v_perm_b32 v[vgprValuA_X1_I0+7], v[vgprValuA_X1_I0_D3+1], v[vgprValuA_X1_I0_D2+1], s[sgprPackKForV1] // select K=23 for vector=1


/* tail loop mfma iter 1: numReadsIterCoalescedA=1, numReadsIterCoalescedB=1 */
v_and_b32 v220, 63, v[vgprSerial]                  // v220 = v[vgprSerial] % 64
v_lshrrev_b32 v220, 4, v220                        // v220 = v220 / 16
v_lshlrev_b32 v220, 0x2, v220                      // v220 = v220 * 4
v_cmp_ge_i32 s[56:57], v220, s[sgprLoopCounterL]   // check K index >= Size L
v_cndmask_b32 v[vgprValuB_X1_I0+0+0+0+0], v[vgprValuB_X1_I0+0+0+0+0], 0x0, s[56:57] // set 0 if K_idx >= sizeL
v_cndmask_b32 v[vgprValuB_X1_I0+2+0+0+0], v[vgprValuB_X1_I0+2+0+0+0], 0x0, s[56:57] // set 0 if K_idx >= sizeL
	;; [unrolled: 1-line block ×32, first 2 shown]
_v_sub_u32 v220, s[sgprLoopCounterL], v220         // get distance between size and k index
v_cmp_lt_i32 s[56:57], v220, 4                     // set partial 0 if distance less than input per thread
s_and_b32 s58, s[sgprLoopCounterL], 3              // get inputs for edge thread
s_sub_u32 s58, 4, s58                              // use shift to fill 0 for outside element
s_lshl_b32 s58, s58, 4                             // use shift to fill 0 for outside element
v_mov_b32 v222, -1                                 // set 0xffffffff
v_mov_b32 v223, -1                                 // set 0xffffffff
v_lshrrev_b64 v[222:223], s58, v[222:223]          // rshift mask for partial k
v_cndmask_b32 v222, -1, v222, s[56:57]             // select shifted mask for partial k
v_cndmask_b32 v223, -1, v223, s[56:57]             // select shifted mask for partial k
v_and_b32 v[vgprValuB_X1_I0+0+0+0+0], v[vgprValuB_X1_I0+0+0+0+0], v222 // 
v_and_b32 v[vgprValuB_X1_I0+0+0+0+1], v[vgprValuB_X1_I0+0+0+0+1], v223 // 
	;; [unrolled: 1-line block ×32, first 2 shown]
s_nop 1
v_mfma_f32_16x16x16_bf16 a[0+0:3+0], v[vgprValuB_X1_I0+0+0+0:vgprValuB_X1_I0+0+0+0+1], v[vgprValuA_X1_I0+0+0+0:vgprValuA_X1_I0+0+0+0+1], a[0:3]
v_mfma_f32_16x16x16_bf16 a[4+0:7+0], v[vgprValuB_X1_I0+0+0+0:vgprValuB_X1_I0+0+0+0+1], v[vgprValuA_X1_I0+2+0+0:vgprValuA_X1_I0+2+0+0+1], a[4:7]
	;; [unrolled: 1-line block ×64, first 2 shown]


/* closeLoop loopL finalLoop=0 tailLoop=1 */
s_sub_i32 s[sgprLoopCounterL], s[sgprLoopCounterL], 0x10 // dec counterL (tailLoop)
s_add_u32 s[sgprOrigLoopCounter], s[sgprOrigLoopCounter], 0x10 // inc counterL
s_cmp_le_i32 s[sgprLoopCounterL], 0x0              // counterL<=0
s_cbranch_scc1 TailLoopEndL_7                      // exit LoopL


/* tail loop unroll iter 2 */


/* local read a */


	;; [unrolled: 1-line block ×3, first 2 shown]
/* local read b */

_ds_load_b64 v[vgprValuB_X0_I0+0:vgprValuB_X0_I0+0+1], v[vgprLocalReadAddrB] offset:0 // L -> Reg lro=0 swapByteOffset=0 ti=32 vIdx=0 rIdx=0 oIdx=0 buffer=0 iui=0
_ds_load_b64 v[vgprValuB_X0_I0+2:vgprValuB_X0_I0+2+1], v[vgprLocalReadAddrB] offset:128 // L -> Reg lro=0 swapByteOffset=0 ti=32 vIdx=0 rIdx=0 oIdx=0 buffer=0 iui=0
	;; [unrolled: 1-line block ×16, first 2 shown]


/* local read inc a */


	;; [unrolled: 1-line block ×3, first 2 shown]
/* local read inc b */

s_mov_b32 s33, 0x20                                // inc
_v_add_co_u32 v[vgprLocalReadAddrB], vcc, s33, v[vgprLocalReadAddrB] // lrB += 32 (LSU*bpe)

s_waitcnt lgkmcnt(0)                               // lgkmcnt=0 vmcnt=-14wait for local read

v_perm_b32 v[vgprValuA_X2_I0+0], v[vgprValuA_X2_I0_D1+0], v[vgprValuA_X2_I0_D0+0], s[sgprPackKForV0] // select K=01 for vector=0
v_perm_b32 v[vgprValuA_X2_I0+1], v[vgprValuA_X2_I0_D3+0], v[vgprValuA_X2_I0_D2+0], s[sgprPackKForV0] // select K=23 for vector=0
v_perm_b32 v[vgprValuA_X2_I0+2], v[vgprValuA_X2_I0_D1+0], v[vgprValuA_X2_I0_D0+0], s[sgprPackKForV1] // select K=01 for vector=1
v_perm_b32 v[vgprValuA_X2_I0+3], v[vgprValuA_X2_I0_D3+0], v[vgprValuA_X2_I0_D2+0], s[sgprPackKForV1] // select K=23 for vector=1
v_perm_b32 v[vgprValuA_X2_I0+4], v[vgprValuA_X2_I0_D1+1], v[vgprValuA_X2_I0_D0+1], s[sgprPackKForV0] // select K=01 for vector=0
v_perm_b32 v[vgprValuA_X2_I0+5], v[vgprValuA_X2_I0_D3+1], v[vgprValuA_X2_I0_D2+1], s[sgprPackKForV0] // select K=23 for vector=0
v_perm_b32 v[vgprValuA_X2_I0+6], v[vgprValuA_X2_I0_D1+1], v[vgprValuA_X2_I0_D0+1], s[sgprPackKForV1] // select K=01 for vector=1
v_perm_b32 v[vgprValuA_X2_I0+7], v[vgprValuA_X2_I0_D3+1], v[vgprValuA_X2_I0_D2+1], s[sgprPackKForV1] // select K=23 for vector=1


/* tail loop mfma iter 2: numReadsIterCoalescedA=1, numReadsIterCoalescedB=1 */
v_and_b32 v220, 63, v[vgprSerial]                  // v220 = v[vgprSerial] % 64
v_lshrrev_b32 v220, 4, v220                        // v220 = v220 / 16
v_lshlrev_b32 v220, 0x2, v220                      // v220 = v220 * 4
v_cmp_ge_i32 s[56:57], v220, s[sgprLoopCounterL]   // check K index >= Size L
v_cndmask_b32 v[vgprValuB_X0_I0+0+0+0+0], v[vgprValuB_X0_I0+0+0+0+0], 0x0, s[56:57] // set 0 if K_idx >= sizeL
v_cndmask_b32 v[vgprValuB_X0_I0+2+0+0+0], v[vgprValuB_X0_I0+2+0+0+0], 0x0, s[56:57] // set 0 if K_idx >= sizeL
	;; [unrolled: 1-line block ×32, first 2 shown]
_v_sub_u32 v220, s[sgprLoopCounterL], v220         // get distance between size and k index
v_cmp_lt_i32 s[56:57], v220, 4                     // set partial 0 if distance less than input per thread
s_and_b32 s58, s[sgprLoopCounterL], 3              // get inputs for edge thread
s_sub_u32 s58, 4, s58                              // use shift to fill 0 for outside element
s_lshl_b32 s58, s58, 4                             // use shift to fill 0 for outside element
v_mov_b32 v222, -1                                 // set 0xffffffff
v_mov_b32 v223, -1                                 // set 0xffffffff
v_lshrrev_b64 v[222:223], s58, v[222:223]          // rshift mask for partial k
v_cndmask_b32 v222, -1, v222, s[56:57]             // select shifted mask for partial k
v_cndmask_b32 v223, -1, v223, s[56:57]             // select shifted mask for partial k
v_and_b32 v[vgprValuB_X0_I0+0+0+0+0], v[vgprValuB_X0_I0+0+0+0+0], v222 // 
v_and_b32 v[vgprValuB_X0_I0+0+0+0+1], v[vgprValuB_X0_I0+0+0+0+1], v223 // 
	;; [unrolled: 1-line block ×32, first 2 shown]
s_nop 1
v_mfma_f32_16x16x16_bf16 a[0+0:3+0], v[vgprValuB_X0_I0+0+0+0:vgprValuB_X0_I0+0+0+0+1], v[vgprValuA_X2_I0+0+0+0:vgprValuA_X2_I0+0+0+0+1], a[0:3]
v_mfma_f32_16x16x16_bf16 a[4+0:7+0], v[vgprValuB_X0_I0+0+0+0:vgprValuB_X0_I0+0+0+0+1], v[vgprValuA_X2_I0+2+0+0:vgprValuA_X2_I0+2+0+0+1], a[4:7]
	;; [unrolled: 1-line block ×64, first 2 shown]


/* closeLoop loopL finalLoop=0 tailLoop=1 */
s_sub_i32 s[sgprLoopCounterL], s[sgprLoopCounterL], 0x10 // dec counterL (tailLoop)
s_add_u32 s[sgprOrigLoopCounter], s[sgprOrigLoopCounter], 0x10 // inc counterL
s_cmp_le_i32 s[sgprLoopCounterL], 0x0              // counterL<=0
s_cbranch_scc1 TailLoopEndL_7                      // exit LoopL


/* tail loop unroll iter 3 */


/* local read a */


	;; [unrolled: 1-line block ×3, first 2 shown]
/* local read b */

_ds_load_b64 v[vgprValuB_X1_I0+0:vgprValuB_X1_I0+0+1], v[vgprLocalReadAddrB] offset:0 // L -> Reg lro=0 swapByteOffset=0 ti=32 vIdx=0 rIdx=0 oIdx=0 buffer=1 iui=0
_ds_load_b64 v[vgprValuB_X1_I0+2:vgprValuB_X1_I0+2+1], v[vgprLocalReadAddrB] offset:128 // L -> Reg lro=0 swapByteOffset=0 ti=32 vIdx=0 rIdx=0 oIdx=0 buffer=1 iui=0
	;; [unrolled: 1-line block ×16, first 2 shown]


/* local read inc a */


	;; [unrolled: 1-line block ×3, first 2 shown]
/* local read inc b */

s_mov_b32 s33, 0x20                                // inc
_v_add_co_u32 v[vgprLocalReadAddrB], vcc, s33, v[vgprLocalReadAddrB] // lrB += 32 (LSU*bpe)

s_waitcnt lgkmcnt(0)                               // lgkmcnt=0 vmcnt=-14wait for local read

v_perm_b32 v[vgprValuA_X3_I0+0], v[vgprValuA_X3_I0_D1+0], v[vgprValuA_X3_I0_D0+0], s[sgprPackKForV0] // select K=01 for vector=0
v_perm_b32 v[vgprValuA_X3_I0+1], v[vgprValuA_X3_I0_D3+0], v[vgprValuA_X3_I0_D2+0], s[sgprPackKForV0] // select K=23 for vector=0
v_perm_b32 v[vgprValuA_X3_I0+2], v[vgprValuA_X3_I0_D1+0], v[vgprValuA_X3_I0_D0+0], s[sgprPackKForV1] // select K=01 for vector=1
v_perm_b32 v[vgprValuA_X3_I0+3], v[vgprValuA_X3_I0_D3+0], v[vgprValuA_X3_I0_D2+0], s[sgprPackKForV1] // select K=23 for vector=1
v_perm_b32 v[vgprValuA_X3_I0+4], v[vgprValuA_X3_I0_D1+1], v[vgprValuA_X3_I0_D0+1], s[sgprPackKForV0] // select K=01 for vector=0
v_perm_b32 v[vgprValuA_X3_I0+5], v[vgprValuA_X3_I0_D3+1], v[vgprValuA_X3_I0_D2+1], s[sgprPackKForV0] // select K=23 for vector=0
v_perm_b32 v[vgprValuA_X3_I0+6], v[vgprValuA_X3_I0_D1+1], v[vgprValuA_X3_I0_D0+1], s[sgprPackKForV1] // select K=01 for vector=1
v_perm_b32 v[vgprValuA_X3_I0+7], v[vgprValuA_X3_I0_D3+1], v[vgprValuA_X3_I0_D2+1], s[sgprPackKForV1] // select K=23 for vector=1


/* tail loop mfma iter 3: numReadsIterCoalescedA=1, numReadsIterCoalescedB=1 */
v_and_b32 v220, 63, v[vgprSerial]                  // v220 = v[vgprSerial] % 64
v_lshrrev_b32 v220, 4, v220                        // v220 = v220 / 16
v_lshlrev_b32 v220, 0x2, v220                      // v220 = v220 * 4
v_cmp_ge_i32 s[56:57], v220, s[sgprLoopCounterL]   // check K index >= Size L
v_cndmask_b32 v[vgprValuB_X1_I0+0+0+0+0], v[vgprValuB_X1_I0+0+0+0+0], 0x0, s[56:57] // set 0 if K_idx >= sizeL
v_cndmask_b32 v[vgprValuB_X1_I0+2+0+0+0], v[vgprValuB_X1_I0+2+0+0+0], 0x0, s[56:57] // set 0 if K_idx >= sizeL
	;; [unrolled: 1-line block ×32, first 2 shown]
_v_sub_u32 v220, s[sgprLoopCounterL], v220         // get distance between size and k index
v_cmp_lt_i32 s[56:57], v220, 4                     // set partial 0 if distance less than input per thread
s_and_b32 s58, s[sgprLoopCounterL], 3              // get inputs for edge thread
s_sub_u32 s58, 4, s58                              // use shift to fill 0 for outside element
s_lshl_b32 s58, s58, 4                             // use shift to fill 0 for outside element
v_mov_b32 v222, -1                                 // set 0xffffffff
v_mov_b32 v223, -1                                 // set 0xffffffff
v_lshrrev_b64 v[222:223], s58, v[222:223]          // rshift mask for partial k
v_cndmask_b32 v222, -1, v222, s[56:57]             // select shifted mask for partial k
v_cndmask_b32 v223, -1, v223, s[56:57]             // select shifted mask for partial k
v_and_b32 v[vgprValuB_X1_I0+0+0+0+0], v[vgprValuB_X1_I0+0+0+0+0], v222 // 
v_and_b32 v[vgprValuB_X1_I0+0+0+0+1], v[vgprValuB_X1_I0+0+0+0+1], v223 // 
	;; [unrolled: 1-line block ×32, first 2 shown]
s_nop 1
v_mfma_f32_16x16x16_bf16 a[0+0:3+0], v[vgprValuB_X1_I0+0+0+0:vgprValuB_X1_I0+0+0+0+1], v[vgprValuA_X3_I0+0+0+0:vgprValuA_X3_I0+0+0+0+1], a[0:3]
v_mfma_f32_16x16x16_bf16 a[4+0:7+0], v[vgprValuB_X1_I0+0+0+0:vgprValuB_X1_I0+0+0+0+1], v[vgprValuA_X3_I0+2+0+0:vgprValuA_X3_I0+2+0+0+1], a[4:7]
	;; [unrolled: 1-line block ×64, first 2 shown]


/* closeLoop loopL finalLoop=1 tailLoop=1 */
s_sub_i32 s[sgprLoopCounterL], s[sgprLoopCounterL], 0x10 // dec counterL (tailLoop)
s_add_u32 s[sgprOrigLoopCounter], s[sgprOrigLoopCounter], 0x10 // inc counterL
s_cmp_le_i32 s[sgprLoopCounterL], 0x0              // counterL<=0
s_cbranch_scc0 TailLoopBeginL_6                    // restart LoopL
TailLoopEndL_7:

SkipTailLoopL_8:

Summation_End_32:
s_setprio 0                                        // optimization store
/* endSummation: add vgpr [0...218) to pool */
.set NumFullBlocks, UNDEF
.set WgmRemainder1, UNDEF
.set MagicNumberWgmRemainder1, UNDEF

/* Mapping of Acc register -> C Vgpr register */


/* shift vector components d0 */

v_mov_b32 v1, s[sgprWorkGroup0]                    // 
v_mul_i32_i24 v1, -0x100, v1                       // wg*MT
_v_add_co_u32 v1, vcc, s[sgprSizesFree+0], v1      // wgMT = Size - wg*MT
v_mov_b32 v2, 0x100                                // MT
v_min_u32 v1, v2, v1                               // wgMT = (wgMT < MT) ? wgMT : MT
v_lshrrev_b32 v0, 6, v[vgprSerial]                 // v0 = v[vgprSerial] / 64
v_and_b32 v3, 3, v0                                // v3 = v0 % 4
v_lshrrev_b32 v0, 6, v1                            // v0 = v1 / 64
v_and_b32 v4, 3, v0                                // v4 = v0 % 4
v_cmp_eq_u32 s[34:35], v4, v3                      // wave_id == block_belong_to_wave?
v_cndmask_b32 v1, v2, v1, s[34:35]                 // wgMT = (wgMT < MT) ? wgMT : MT

/* mbReg: which mb block need to shift, mb(matrixInstCoal(16) * VectorWidth(4)) */
v_lshrrev_b32 v2, 6, v1                            // v2 = v1 / 64
v_lshlrev_b32 v4, 0x0, v3                          // v4 = v3 * 1
_v_sub_u32 v2, v2, v4                              // 

/* gbReg: glvw block id */
v_lshrrev_b32 v4, 2, v1                            // v4 = v1 / 4

/* tgbReg: glvw block id */
v_lshrrev_b32 v0, 0, v[vgprSerial]                 // v0 = v[vgprSerial] / 1
v_and_b32 v5, 15, v0                               // v5 = v0 % 16
v_lshlrev_b32 v5, 0x2, v5                          // v5 = v5 * 4
v_lshrrev_b32 v5, 2, v5                            // v5 = v5 / 4
v_lshlrev_b32 v3, 0x4, v3                          // v3 = v3 * 16
_v_add_co_u32 v5, vcc, v3, v5                      // tgbReg = (tid_coal * continOut) / GLVW
_v_sub_u32 v4, v4, v5                              // 

/* vwReg: glvw in which vw block? */
v_and_b32 v3, 3, v1                                // permute register between threads
v_lshrrev_b32 v3, 2, v3                            // permute register between threads

/* rReg : reminder of M_size % GlobalLoadVectorWidth */
v_and_b32 v5, 3, v1                                // v5 = v1 % 4
v_cmp_eq_u32 vcc, v5, 0x1                          // wgMT%VW == 1
s_cbranch_vccnz label_0033                         // branch to shift d0 r=1
v_cmp_eq_u32 vcc, v5, 0x2                          // wgMT%VW == 2
s_cbranch_vccnz label_0036                         // branch to shift d0 r=2
v_cmp_eq_u32 vcc, v5, 0x3                          // wgMT%VW == 3
s_cbranch_vccnz label_0039                         // branch to shift d0 r=3
s_branch label_0042                                // no shifting

/******************************************/
/* shift d0 r=1                           */
/******************************************/
label_0033:
v_cmp_eq_u32 vcc, v2, 0x0                          // 
s_cbranch_vccnz label_0034                         // branch to shift d0 r1 mb0

/******************************************/
/* shift d0 r=2                           */
/******************************************/
label_0036:
v_cmp_eq_u32 vcc, v2, 0x0                          // 
s_cbranch_vccnz label_0037                         // branch to shift d0 r2 mb0

/******************************************/
/* shift d0 r=3                           */
/******************************************/
label_0039:
v_cmp_eq_u32 vcc, v2, 0x0                          // 
s_cbranch_vccnz label_0040                         // branch to shift d0 r3 mb0

/******************************************/
/* shift d0 r=1 mb=0                      */
/******************************************/
label_0034: // r1 mb0 
v_cmp_eq_u32 vcc, v3, 0x0                          // 
s_cbranch_vccnz label_0035                         // branch to shift d0 r1 mb0 vw0

/******************************************/
/* shift d0 r=2 mb=0                      */
/******************************************/
label_0037: // r2 mb0 
v_cmp_eq_u32 vcc, v3, 0x0                          // 
s_cbranch_vccnz label_0038                         // branch to shift d0 r2 mb0 vw0

/******************************************/
/* shift d0 r=3 mb=0                      */
/******************************************/
label_0040: // r3 mb0 
v_cmp_eq_u32 vcc, v3, 0x0                          // 
s_cbranch_vccnz label_0041                         // branch to shift d0 r3 mb0 vw0

/******************************************/
/* shift d0 r=1 mb=0 vw0                  */
/******************************************/
label_0035: // r1 mb0 vw0 
s_mov_b32 s34, 0                                   // 
_v_cmpx_eq_u32 s[34:35], v4, s34                   // is thread in edge glvw region
v_and_b32 v0, 63, v[vgprSerial]                    // permute register between threads
v_lshlrev_b32 v0, 2, v0                            // permute register between threads
v_accvgpr_read_b32 v5, acc12                       // glvw 1 mb 0 tt1 0 r 0
s_nop 1                                            // v_accvgpr read vgpr after write vgpr: 2 wait states
v_accvgpr_write_b32 acc0, v5                       // 
v_accvgpr_read_b32 v5, acc28                       // glvw 1 mb 0 tt1 1 r 0
s_nop 1                                            // v_accvgpr read vgpr after write vgpr: 2 wait states
v_accvgpr_write_b32 acc16, v5                      // 
v_accvgpr_read_b32 v5, acc13                       // glvw 1 mb 0 tt1 2 r 0
s_nop 1                                            // v_accvgpr read vgpr after write vgpr: 2 wait states
v_accvgpr_write_b32 acc1, v5                       // 
v_accvgpr_read_b32 v5, acc29                       // glvw 1 mb 0 tt1 3 r 0
s_nop 1                                            // v_accvgpr read vgpr after write vgpr: 2 wait states
v_accvgpr_write_b32 acc17, v5                      // 
v_accvgpr_read_b32 v5, acc14                       // glvw 1 mb 0 tt1 4 r 0
s_nop 1                                            // v_accvgpr read vgpr after write vgpr: 2 wait states
v_accvgpr_write_b32 acc2, v5                       // 
v_accvgpr_read_b32 v5, acc30                       // glvw 1 mb 0 tt1 5 r 0
s_nop 1                                            // v_accvgpr read vgpr after write vgpr: 2 wait states
v_accvgpr_write_b32 acc18, v5                      // 
v_accvgpr_read_b32 v5, acc15                       // glvw 1 mb 0 tt1 6 r 0
s_nop 1                                            // v_accvgpr read vgpr after write vgpr: 2 wait states
v_accvgpr_write_b32 acc3, v5                       // 
v_accvgpr_read_b32 v5, acc31                       // glvw 1 mb 0 tt1 7 r 0
s_nop 1                                            // v_accvgpr read vgpr after write vgpr: 2 wait states
v_accvgpr_write_b32 acc19, v5                      // 
v_accvgpr_read_b32 v5, acc44                       // glvw 1 mb 0 tt1 8 r 0
s_nop 1                                            // v_accvgpr read vgpr after write vgpr: 2 wait states
v_accvgpr_write_b32 acc32, v5                      // 
v_accvgpr_read_b32 v5, acc60                       // glvw 1 mb 0 tt1 9 r 0
s_nop 1                                            // v_accvgpr read vgpr after write vgpr: 2 wait states
v_accvgpr_write_b32 acc48, v5                      // 
v_accvgpr_read_b32 v5, acc45                       // glvw 1 mb 0 tt1 10 r 0
s_nop 1                                            // v_accvgpr read vgpr after write vgpr: 2 wait states
v_accvgpr_write_b32 acc33, v5                      // 
v_accvgpr_read_b32 v5, acc61                       // glvw 1 mb 0 tt1 11 r 0
s_nop 1                                            // v_accvgpr read vgpr after write vgpr: 2 wait states
v_accvgpr_write_b32 acc49, v5                      // 
v_accvgpr_read_b32 v5, acc46                       // glvw 1 mb 0 tt1 12 r 0
s_nop 1                                            // v_accvgpr read vgpr after write vgpr: 2 wait states
v_accvgpr_write_b32 acc34, v5                      // 
v_accvgpr_read_b32 v5, acc62                       // glvw 1 mb 0 tt1 13 r 0
s_nop 1                                            // v_accvgpr read vgpr after write vgpr: 2 wait states
v_accvgpr_write_b32 acc50, v5                      // 
v_accvgpr_read_b32 v5, acc47                       // glvw 1 mb 0 tt1 14 r 0
s_nop 1                                            // v_accvgpr read vgpr after write vgpr: 2 wait states
v_accvgpr_write_b32 acc35, v5                      // 
v_accvgpr_read_b32 v5, acc63                       // glvw 1 mb 0 tt1 15 r 0
s_nop 1                                            // v_accvgpr read vgpr after write vgpr: 2 wait states
v_accvgpr_write_b32 acc51, v5                      // 
v_accvgpr_read_b32 v5, acc76                       // glvw 1 mb 0 tt1 16 r 0
s_nop 1                                            // v_accvgpr read vgpr after write vgpr: 2 wait states
v_accvgpr_write_b32 acc64, v5                      // 
v_accvgpr_read_b32 v5, acc92                       // glvw 1 mb 0 tt1 17 r 0
s_nop 1                                            // v_accvgpr read vgpr after write vgpr: 2 wait states
v_accvgpr_write_b32 acc80, v5                      // 
v_accvgpr_read_b32 v5, acc77                       // glvw 1 mb 0 tt1 18 r 0
s_nop 1                                            // v_accvgpr read vgpr after write vgpr: 2 wait states
v_accvgpr_write_b32 acc65, v5                      // 
v_accvgpr_read_b32 v5, acc93                       // glvw 1 mb 0 tt1 19 r 0
s_nop 1                                            // v_accvgpr read vgpr after write vgpr: 2 wait states
v_accvgpr_write_b32 acc81, v5                      // 
v_accvgpr_read_b32 v5, acc78                       // glvw 1 mb 0 tt1 20 r 0
s_nop 1                                            // v_accvgpr read vgpr after write vgpr: 2 wait states
v_accvgpr_write_b32 acc66, v5                      // 
v_accvgpr_read_b32 v5, acc94                       // glvw 1 mb 0 tt1 21 r 0
s_nop 1                                            // v_accvgpr read vgpr after write vgpr: 2 wait states
v_accvgpr_write_b32 acc82, v5                      // 
v_accvgpr_read_b32 v5, acc79                       // glvw 1 mb 0 tt1 22 r 0
s_nop 1                                            // v_accvgpr read vgpr after write vgpr: 2 wait states
v_accvgpr_write_b32 acc67, v5                      // 
v_accvgpr_read_b32 v5, acc95                       // glvw 1 mb 0 tt1 23 r 0
s_nop 1                                            // v_accvgpr read vgpr after write vgpr: 2 wait states
v_accvgpr_write_b32 acc83, v5                      // 
v_accvgpr_read_b32 v5, acc108                      // glvw 1 mb 0 tt1 24 r 0
s_nop 1                                            // v_accvgpr read vgpr after write vgpr: 2 wait states
v_accvgpr_write_b32 acc96, v5                      // 
v_accvgpr_read_b32 v5, acc124                      // glvw 1 mb 0 tt1 25 r 0
s_nop 1                                            // v_accvgpr read vgpr after write vgpr: 2 wait states
v_accvgpr_write_b32 acc112, v5                     // 
v_accvgpr_read_b32 v5, acc109                      // glvw 1 mb 0 tt1 26 r 0
s_nop 1                                            // v_accvgpr read vgpr after write vgpr: 2 wait states
v_accvgpr_write_b32 acc97, v5                      // 
v_accvgpr_read_b32 v5, acc125                      // glvw 1 mb 0 tt1 27 r 0
s_nop 1                                            // v_accvgpr read vgpr after write vgpr: 2 wait states
v_accvgpr_write_b32 acc113, v5                     // 
v_accvgpr_read_b32 v5, acc110                      // glvw 1 mb 0 tt1 28 r 0
s_nop 1                                            // v_accvgpr read vgpr after write vgpr: 2 wait states
v_accvgpr_write_b32 acc98, v5                      // 
v_accvgpr_read_b32 v5, acc126                      // glvw 1 mb 0 tt1 29 r 0
s_nop 1                                            // v_accvgpr read vgpr after write vgpr: 2 wait states
v_accvgpr_write_b32 acc114, v5                     // 
v_accvgpr_read_b32 v5, acc111                      // glvw 1 mb 0 tt1 30 r 0
s_nop 1                                            // v_accvgpr read vgpr after write vgpr: 2 wait states
v_accvgpr_write_b32 acc99, v5                      // 
v_accvgpr_read_b32 v5, acc127                      // glvw 1 mb 0 tt1 31 r 0
s_nop 1                                            // v_accvgpr read vgpr after write vgpr: 2 wait states
v_accvgpr_write_b32 acc115, v5                     // 
v_accvgpr_read_b32 v5, acc140                      // glvw 1 mb 0 tt1 32 r 0
s_nop 1                                            // v_accvgpr read vgpr after write vgpr: 2 wait states
v_accvgpr_write_b32 acc128, v5                     // 
v_accvgpr_read_b32 v5, acc156                      // glvw 1 mb 0 tt1 33 r 0
s_nop 1                                            // v_accvgpr read vgpr after write vgpr: 2 wait states
v_accvgpr_write_b32 acc144, v5                     // 
v_accvgpr_read_b32 v5, acc141                      // glvw 1 mb 0 tt1 34 r 0
s_nop 1                                            // v_accvgpr read vgpr after write vgpr: 2 wait states
v_accvgpr_write_b32 acc129, v5                     // 
v_accvgpr_read_b32 v5, acc157                      // glvw 1 mb 0 tt1 35 r 0
s_nop 1                                            // v_accvgpr read vgpr after write vgpr: 2 wait states
v_accvgpr_write_b32 acc145, v5                     // 
v_accvgpr_read_b32 v5, acc142                      // glvw 1 mb 0 tt1 36 r 0
s_nop 1                                            // v_accvgpr read vgpr after write vgpr: 2 wait states
v_accvgpr_write_b32 acc130, v5                     // 
v_accvgpr_read_b32 v5, acc158                      // glvw 1 mb 0 tt1 37 r 0
s_nop 1                                            // v_accvgpr read vgpr after write vgpr: 2 wait states
v_accvgpr_write_b32 acc146, v5                     // 
v_accvgpr_read_b32 v5, acc143                      // glvw 1 mb 0 tt1 38 r 0
s_nop 1                                            // v_accvgpr read vgpr after write vgpr: 2 wait states
v_accvgpr_write_b32 acc131, v5                     // 
v_accvgpr_read_b32 v5, acc159                      // glvw 1 mb 0 tt1 39 r 0
s_nop 1                                            // v_accvgpr read vgpr after write vgpr: 2 wait states
v_accvgpr_write_b32 acc147, v5                     // 
v_accvgpr_read_b32 v5, acc172                      // glvw 1 mb 0 tt1 40 r 0
s_nop 1                                            // v_accvgpr read vgpr after write vgpr: 2 wait states
v_accvgpr_write_b32 acc160, v5                     // 
v_accvgpr_read_b32 v5, acc188                      // glvw 1 mb 0 tt1 41 r 0
s_nop 1                                            // v_accvgpr read vgpr after write vgpr: 2 wait states
v_accvgpr_write_b32 acc176, v5                     // 
v_accvgpr_read_b32 v5, acc173                      // glvw 1 mb 0 tt1 42 r 0
s_nop 1                                            // v_accvgpr read vgpr after write vgpr: 2 wait states
v_accvgpr_write_b32 acc161, v5                     // 
v_accvgpr_read_b32 v5, acc189                      // glvw 1 mb 0 tt1 43 r 0
s_nop 1                                            // v_accvgpr read vgpr after write vgpr: 2 wait states
v_accvgpr_write_b32 acc177, v5                     // 
v_accvgpr_read_b32 v5, acc174                      // glvw 1 mb 0 tt1 44 r 0
s_nop 1                                            // v_accvgpr read vgpr after write vgpr: 2 wait states
v_accvgpr_write_b32 acc162, v5                     // 
v_accvgpr_read_b32 v5, acc190                      // glvw 1 mb 0 tt1 45 r 0
s_nop 1                                            // v_accvgpr read vgpr after write vgpr: 2 wait states
v_accvgpr_write_b32 acc178, v5                     // 
v_accvgpr_read_b32 v5, acc175                      // glvw 1 mb 0 tt1 46 r 0
s_nop 1                                            // v_accvgpr read vgpr after write vgpr: 2 wait states
v_accvgpr_write_b32 acc163, v5                     // 
v_accvgpr_read_b32 v5, acc191                      // glvw 1 mb 0 tt1 47 r 0
s_nop 1                                            // v_accvgpr read vgpr after write vgpr: 2 wait states
v_accvgpr_write_b32 acc179, v5                     // 
v_accvgpr_read_b32 v5, acc204                      // glvw 1 mb 0 tt1 48 r 0
s_nop 1                                            // v_accvgpr read vgpr after write vgpr: 2 wait states
v_accvgpr_write_b32 acc192, v5                     // 
v_accvgpr_read_b32 v5, acc220                      // glvw 1 mb 0 tt1 49 r 0
s_nop 1                                            // v_accvgpr read vgpr after write vgpr: 2 wait states
v_accvgpr_write_b32 acc208, v5                     // 
v_accvgpr_read_b32 v5, acc205                      // glvw 1 mb 0 tt1 50 r 0
s_nop 1                                            // v_accvgpr read vgpr after write vgpr: 2 wait states
v_accvgpr_write_b32 acc193, v5                     // 
v_accvgpr_read_b32 v5, acc221                      // glvw 1 mb 0 tt1 51 r 0
s_nop 1                                            // v_accvgpr read vgpr after write vgpr: 2 wait states
v_accvgpr_write_b32 acc209, v5                     // 
v_accvgpr_read_b32 v5, acc206                      // glvw 1 mb 0 tt1 52 r 0
s_nop 1                                            // v_accvgpr read vgpr after write vgpr: 2 wait states
v_accvgpr_write_b32 acc194, v5                     // 
v_accvgpr_read_b32 v5, acc222                      // glvw 1 mb 0 tt1 53 r 0
s_nop 1                                            // v_accvgpr read vgpr after write vgpr: 2 wait states
v_accvgpr_write_b32 acc210, v5                     // 
v_accvgpr_read_b32 v5, acc207                      // glvw 1 mb 0 tt1 54 r 0
s_nop 1                                            // v_accvgpr read vgpr after write vgpr: 2 wait states
v_accvgpr_write_b32 acc195, v5                     // 
v_accvgpr_read_b32 v5, acc223                      // glvw 1 mb 0 tt1 55 r 0
s_nop 1                                            // v_accvgpr read vgpr after write vgpr: 2 wait states
v_accvgpr_write_b32 acc211, v5                     // 
v_accvgpr_read_b32 v5, acc236                      // glvw 1 mb 0 tt1 56 r 0
s_nop 1                                            // v_accvgpr read vgpr after write vgpr: 2 wait states
v_accvgpr_write_b32 acc224, v5                     // 
v_accvgpr_read_b32 v5, acc252                      // glvw 1 mb 0 tt1 57 r 0
s_nop 1                                            // v_accvgpr read vgpr after write vgpr: 2 wait states
v_accvgpr_write_b32 acc240, v5                     // 
v_accvgpr_read_b32 v5, acc237                      // glvw 1 mb 0 tt1 58 r 0
s_nop 1                                            // v_accvgpr read vgpr after write vgpr: 2 wait states
v_accvgpr_write_b32 acc225, v5                     // 
v_accvgpr_read_b32 v5, acc253                      // glvw 1 mb 0 tt1 59 r 0
s_nop 1                                            // v_accvgpr read vgpr after write vgpr: 2 wait states
v_accvgpr_write_b32 acc241, v5                     // 
v_accvgpr_read_b32 v5, acc238                      // glvw 1 mb 0 tt1 60 r 0
s_nop 1                                            // v_accvgpr read vgpr after write vgpr: 2 wait states
v_accvgpr_write_b32 acc226, v5                     // 
v_accvgpr_read_b32 v5, acc254                      // glvw 1 mb 0 tt1 61 r 0
s_nop 1                                            // v_accvgpr read vgpr after write vgpr: 2 wait states
v_accvgpr_write_b32 acc242, v5                     // 
v_accvgpr_read_b32 v5, acc239                      // glvw 1 mb 0 tt1 62 r 0
s_nop 1                                            // v_accvgpr read vgpr after write vgpr: 2 wait states
v_accvgpr_write_b32 acc227, v5                     // 
v_accvgpr_read_b32 v5, acc255                      // glvw 1 mb 0 tt1 63 r 0
s_nop 1                                            // v_accvgpr read vgpr after write vgpr: 2 wait states
v_accvgpr_write_b32 acc243, v5                     // 
s_mov_b64 s[34:35], 0xFFFFFFFFFFFFFFFF             // to restore all threads active
s_or_saveexec_b64 vcc, s[34:35]                    // all threads active
s_branch label_0042                                // done shifting


/******************************************/
/* shift d0 r=2 mb=0 vw0                  */
/******************************************/
label_0038: // r2 mb0 vw0 
s_mov_b32 s34, 0                                   // 
_v_cmpx_eq_u32 s[34:35], v4, s34                   // is thread in edge glvw region
v_and_b32 v0, 63, v[vgprSerial]                    // permute register between threads
v_lshlrev_b32 v0, 2, v0                            // permute register between threads
v_accvgpr_read_b32 v5, acc8                        // glvw 2 mb 0 tt1 0 r 0
v_accvgpr_read_b32 v6, acc12                       // glvw 2 mb 0 tt1 0 r 0
s_nop 1                                            // v_accvgpr read vgpr after write vgpr: 2 wait states
v_accvgpr_write_b32 acc0, v5                       // 
v_accvgpr_write_b32 acc4, v6                       // 
v_accvgpr_read_b32 v5, acc24                       // glvw 2 mb 0 tt1 1 r 0
v_accvgpr_read_b32 v6, acc28                       // glvw 2 mb 0 tt1 1 r 0
s_nop 1                                            // v_accvgpr read vgpr after write vgpr: 2 wait states
v_accvgpr_write_b32 acc16, v5                      // 
v_accvgpr_write_b32 acc20, v6                      // 
v_accvgpr_read_b32 v5, acc9                        // glvw 2 mb 0 tt1 2 r 0
v_accvgpr_read_b32 v6, acc13                       // glvw 2 mb 0 tt1 2 r 0
s_nop 1                                            // v_accvgpr read vgpr after write vgpr: 2 wait states
v_accvgpr_write_b32 acc1, v5                       // 
v_accvgpr_write_b32 acc5, v6                       // 
v_accvgpr_read_b32 v5, acc25                       // glvw 2 mb 0 tt1 3 r 0
v_accvgpr_read_b32 v6, acc29                       // glvw 2 mb 0 tt1 3 r 0
s_nop 1                                            // v_accvgpr read vgpr after write vgpr: 2 wait states
v_accvgpr_write_b32 acc17, v5                      // 
v_accvgpr_write_b32 acc21, v6                      // 
v_accvgpr_read_b32 v5, acc10                       // glvw 2 mb 0 tt1 4 r 0
v_accvgpr_read_b32 v6, acc14                       // glvw 2 mb 0 tt1 4 r 0
s_nop 1                                            // v_accvgpr read vgpr after write vgpr: 2 wait states
v_accvgpr_write_b32 acc2, v5                       // 
v_accvgpr_write_b32 acc6, v6                       // 
v_accvgpr_read_b32 v5, acc26                       // glvw 2 mb 0 tt1 5 r 0
v_accvgpr_read_b32 v6, acc30                       // glvw 2 mb 0 tt1 5 r 0
s_nop 1                                            // v_accvgpr read vgpr after write vgpr: 2 wait states
v_accvgpr_write_b32 acc18, v5                      // 
v_accvgpr_write_b32 acc22, v6                      // 
v_accvgpr_read_b32 v5, acc11                       // glvw 2 mb 0 tt1 6 r 0
v_accvgpr_read_b32 v6, acc15                       // glvw 2 mb 0 tt1 6 r 0
s_nop 1                                            // v_accvgpr read vgpr after write vgpr: 2 wait states
v_accvgpr_write_b32 acc3, v5                       // 
v_accvgpr_write_b32 acc7, v6                       // 
v_accvgpr_read_b32 v5, acc27                       // glvw 2 mb 0 tt1 7 r 0
v_accvgpr_read_b32 v6, acc31                       // glvw 2 mb 0 tt1 7 r 0
s_nop 1                                            // v_accvgpr read vgpr after write vgpr: 2 wait states
v_accvgpr_write_b32 acc19, v5                      // 
v_accvgpr_write_b32 acc23, v6                      // 
v_accvgpr_read_b32 v5, acc40                       // glvw 2 mb 0 tt1 8 r 0
v_accvgpr_read_b32 v6, acc44                       // glvw 2 mb 0 tt1 8 r 0
s_nop 1                                            // v_accvgpr read vgpr after write vgpr: 2 wait states
v_accvgpr_write_b32 acc32, v5                      // 
v_accvgpr_write_b32 acc36, v6                      // 
v_accvgpr_read_b32 v5, acc56                       // glvw 2 mb 0 tt1 9 r 0
v_accvgpr_read_b32 v6, acc60                       // glvw 2 mb 0 tt1 9 r 0
s_nop 1                                            // v_accvgpr read vgpr after write vgpr: 2 wait states
v_accvgpr_write_b32 acc48, v5                      // 
v_accvgpr_write_b32 acc52, v6                      // 
v_accvgpr_read_b32 v5, acc41                       // glvw 2 mb 0 tt1 10 r 0
v_accvgpr_read_b32 v6, acc45                       // glvw 2 mb 0 tt1 10 r 0
s_nop 1                                            // v_accvgpr read vgpr after write vgpr: 2 wait states
v_accvgpr_write_b32 acc33, v5                      // 
v_accvgpr_write_b32 acc37, v6                      // 
v_accvgpr_read_b32 v5, acc57                       // glvw 2 mb 0 tt1 11 r 0
v_accvgpr_read_b32 v6, acc61                       // glvw 2 mb 0 tt1 11 r 0
s_nop 1                                            // v_accvgpr read vgpr after write vgpr: 2 wait states
v_accvgpr_write_b32 acc49, v5                      // 
v_accvgpr_write_b32 acc53, v6                      // 
v_accvgpr_read_b32 v5, acc42                       // glvw 2 mb 0 tt1 12 r 0
v_accvgpr_read_b32 v6, acc46                       // glvw 2 mb 0 tt1 12 r 0
s_nop 1                                            // v_accvgpr read vgpr after write vgpr: 2 wait states
v_accvgpr_write_b32 acc34, v5                      // 
v_accvgpr_write_b32 acc38, v6                      // 
v_accvgpr_read_b32 v5, acc58                       // glvw 2 mb 0 tt1 13 r 0
v_accvgpr_read_b32 v6, acc62                       // glvw 2 mb 0 tt1 13 r 0
s_nop 1                                            // v_accvgpr read vgpr after write vgpr: 2 wait states
v_accvgpr_write_b32 acc50, v5                      // 
v_accvgpr_write_b32 acc54, v6                      // 
v_accvgpr_read_b32 v5, acc43                       // glvw 2 mb 0 tt1 14 r 0
v_accvgpr_read_b32 v6, acc47                       // glvw 2 mb 0 tt1 14 r 0
s_nop 1                                            // v_accvgpr read vgpr after write vgpr: 2 wait states
v_accvgpr_write_b32 acc35, v5                      // 
v_accvgpr_write_b32 acc39, v6                      // 
v_accvgpr_read_b32 v5, acc59                       // glvw 2 mb 0 tt1 15 r 0
v_accvgpr_read_b32 v6, acc63                       // glvw 2 mb 0 tt1 15 r 0
s_nop 1                                            // v_accvgpr read vgpr after write vgpr: 2 wait states
v_accvgpr_write_b32 acc51, v5                      // 
v_accvgpr_write_b32 acc55, v6                      // 
v_accvgpr_read_b32 v5, acc72                       // glvw 2 mb 0 tt1 16 r 0
v_accvgpr_read_b32 v6, acc76                       // glvw 2 mb 0 tt1 16 r 0
s_nop 1                                            // v_accvgpr read vgpr after write vgpr: 2 wait states
v_accvgpr_write_b32 acc64, v5                      // 
v_accvgpr_write_b32 acc68, v6                      // 
v_accvgpr_read_b32 v5, acc88                       // glvw 2 mb 0 tt1 17 r 0
v_accvgpr_read_b32 v6, acc92                       // glvw 2 mb 0 tt1 17 r 0
s_nop 1                                            // v_accvgpr read vgpr after write vgpr: 2 wait states
v_accvgpr_write_b32 acc80, v5                      // 
v_accvgpr_write_b32 acc84, v6                      // 
v_accvgpr_read_b32 v5, acc73                       // glvw 2 mb 0 tt1 18 r 0
v_accvgpr_read_b32 v6, acc77                       // glvw 2 mb 0 tt1 18 r 0
s_nop 1                                            // v_accvgpr read vgpr after write vgpr: 2 wait states
v_accvgpr_write_b32 acc65, v5                      // 
v_accvgpr_write_b32 acc69, v6                      // 
v_accvgpr_read_b32 v5, acc89                       // glvw 2 mb 0 tt1 19 r 0
v_accvgpr_read_b32 v6, acc93                       // glvw 2 mb 0 tt1 19 r 0
s_nop 1                                            // v_accvgpr read vgpr after write vgpr: 2 wait states
v_accvgpr_write_b32 acc81, v5                      // 
v_accvgpr_write_b32 acc85, v6                      // 
v_accvgpr_read_b32 v5, acc74                       // glvw 2 mb 0 tt1 20 r 0
v_accvgpr_read_b32 v6, acc78                       // glvw 2 mb 0 tt1 20 r 0
s_nop 1                                            // v_accvgpr read vgpr after write vgpr: 2 wait states
v_accvgpr_write_b32 acc66, v5                      // 
v_accvgpr_write_b32 acc70, v6                      // 
v_accvgpr_read_b32 v5, acc90                       // glvw 2 mb 0 tt1 21 r 0
v_accvgpr_read_b32 v6, acc94                       // glvw 2 mb 0 tt1 21 r 0
s_nop 1                                            // v_accvgpr read vgpr after write vgpr: 2 wait states
v_accvgpr_write_b32 acc82, v5                      // 
v_accvgpr_write_b32 acc86, v6                      // 
v_accvgpr_read_b32 v5, acc75                       // glvw 2 mb 0 tt1 22 r 0
v_accvgpr_read_b32 v6, acc79                       // glvw 2 mb 0 tt1 22 r 0
s_nop 1                                            // v_accvgpr read vgpr after write vgpr: 2 wait states
v_accvgpr_write_b32 acc67, v5                      // 
v_accvgpr_write_b32 acc71, v6                      // 
v_accvgpr_read_b32 v5, acc91                       // glvw 2 mb 0 tt1 23 r 0
v_accvgpr_read_b32 v6, acc95                       // glvw 2 mb 0 tt1 23 r 0
s_nop 1                                            // v_accvgpr read vgpr after write vgpr: 2 wait states
v_accvgpr_write_b32 acc83, v5                      // 
v_accvgpr_write_b32 acc87, v6                      // 
v_accvgpr_read_b32 v5, acc104                      // glvw 2 mb 0 tt1 24 r 0
v_accvgpr_read_b32 v6, acc108                      // glvw 2 mb 0 tt1 24 r 0
s_nop 1                                            // v_accvgpr read vgpr after write vgpr: 2 wait states
v_accvgpr_write_b32 acc96, v5                      // 
v_accvgpr_write_b32 acc100, v6                     // 
v_accvgpr_read_b32 v5, acc120                      // glvw 2 mb 0 tt1 25 r 0
v_accvgpr_read_b32 v6, acc124                      // glvw 2 mb 0 tt1 25 r 0
s_nop 1                                            // v_accvgpr read vgpr after write vgpr: 2 wait states
v_accvgpr_write_b32 acc112, v5                     // 
v_accvgpr_write_b32 acc116, v6                     // 
v_accvgpr_read_b32 v5, acc105                      // glvw 2 mb 0 tt1 26 r 0
v_accvgpr_read_b32 v6, acc109                      // glvw 2 mb 0 tt1 26 r 0
s_nop 1                                            // v_accvgpr read vgpr after write vgpr: 2 wait states
v_accvgpr_write_b32 acc97, v5                      // 
v_accvgpr_write_b32 acc101, v6                     // 
v_accvgpr_read_b32 v5, acc121                      // glvw 2 mb 0 tt1 27 r 0
v_accvgpr_read_b32 v6, acc125                      // glvw 2 mb 0 tt1 27 r 0
s_nop 1                                            // v_accvgpr read vgpr after write vgpr: 2 wait states
v_accvgpr_write_b32 acc113, v5                     // 
v_accvgpr_write_b32 acc117, v6                     // 
v_accvgpr_read_b32 v5, acc106                      // glvw 2 mb 0 tt1 28 r 0
v_accvgpr_read_b32 v6, acc110                      // glvw 2 mb 0 tt1 28 r 0
s_nop 1                                            // v_accvgpr read vgpr after write vgpr: 2 wait states
v_accvgpr_write_b32 acc98, v5                      // 
v_accvgpr_write_b32 acc102, v6                     // 
v_accvgpr_read_b32 v5, acc122                      // glvw 2 mb 0 tt1 29 r 0
v_accvgpr_read_b32 v6, acc126                      // glvw 2 mb 0 tt1 29 r 0
s_nop 1                                            // v_accvgpr read vgpr after write vgpr: 2 wait states
v_accvgpr_write_b32 acc114, v5                     // 
v_accvgpr_write_b32 acc118, v6                     // 
v_accvgpr_read_b32 v5, acc107                      // glvw 2 mb 0 tt1 30 r 0
v_accvgpr_read_b32 v6, acc111                      // glvw 2 mb 0 tt1 30 r 0
s_nop 1                                            // v_accvgpr read vgpr after write vgpr: 2 wait states
v_accvgpr_write_b32 acc99, v5                      // 
v_accvgpr_write_b32 acc103, v6                     // 
v_accvgpr_read_b32 v5, acc123                      // glvw 2 mb 0 tt1 31 r 0
v_accvgpr_read_b32 v6, acc127                      // glvw 2 mb 0 tt1 31 r 0
s_nop 1                                            // v_accvgpr read vgpr after write vgpr: 2 wait states
v_accvgpr_write_b32 acc115, v5                     // 
v_accvgpr_write_b32 acc119, v6                     // 
v_accvgpr_read_b32 v5, acc136                      // glvw 2 mb 0 tt1 32 r 0
v_accvgpr_read_b32 v6, acc140                      // glvw 2 mb 0 tt1 32 r 0
s_nop 1                                            // v_accvgpr read vgpr after write vgpr: 2 wait states
v_accvgpr_write_b32 acc128, v5                     // 
v_accvgpr_write_b32 acc132, v6                     // 
v_accvgpr_read_b32 v5, acc152                      // glvw 2 mb 0 tt1 33 r 0
v_accvgpr_read_b32 v6, acc156                      // glvw 2 mb 0 tt1 33 r 0
s_nop 1                                            // v_accvgpr read vgpr after write vgpr: 2 wait states
v_accvgpr_write_b32 acc144, v5                     // 
v_accvgpr_write_b32 acc148, v6                     // 
v_accvgpr_read_b32 v5, acc137                      // glvw 2 mb 0 tt1 34 r 0
v_accvgpr_read_b32 v6, acc141                      // glvw 2 mb 0 tt1 34 r 0
s_nop 1                                            // v_accvgpr read vgpr after write vgpr: 2 wait states
v_accvgpr_write_b32 acc129, v5                     // 
v_accvgpr_write_b32 acc133, v6                     // 
v_accvgpr_read_b32 v5, acc153                      // glvw 2 mb 0 tt1 35 r 0
v_accvgpr_read_b32 v6, acc157                      // glvw 2 mb 0 tt1 35 r 0
s_nop 1                                            // v_accvgpr read vgpr after write vgpr: 2 wait states
v_accvgpr_write_b32 acc145, v5                     // 
v_accvgpr_write_b32 acc149, v6                     // 
v_accvgpr_read_b32 v5, acc138                      // glvw 2 mb 0 tt1 36 r 0
v_accvgpr_read_b32 v6, acc142                      // glvw 2 mb 0 tt1 36 r 0
s_nop 1                                            // v_accvgpr read vgpr after write vgpr: 2 wait states
v_accvgpr_write_b32 acc130, v5                     // 
v_accvgpr_write_b32 acc134, v6                     // 
v_accvgpr_read_b32 v5, acc154                      // glvw 2 mb 0 tt1 37 r 0
v_accvgpr_read_b32 v6, acc158                      // glvw 2 mb 0 tt1 37 r 0
s_nop 1                                            // v_accvgpr read vgpr after write vgpr: 2 wait states
v_accvgpr_write_b32 acc146, v5                     // 
v_accvgpr_write_b32 acc150, v6                     // 
v_accvgpr_read_b32 v5, acc139                      // glvw 2 mb 0 tt1 38 r 0
v_accvgpr_read_b32 v6, acc143                      // glvw 2 mb 0 tt1 38 r 0
s_nop 1                                            // v_accvgpr read vgpr after write vgpr: 2 wait states
v_accvgpr_write_b32 acc131, v5                     // 
v_accvgpr_write_b32 acc135, v6                     // 
v_accvgpr_read_b32 v5, acc155                      // glvw 2 mb 0 tt1 39 r 0
v_accvgpr_read_b32 v6, acc159                      // glvw 2 mb 0 tt1 39 r 0
s_nop 1                                            // v_accvgpr read vgpr after write vgpr: 2 wait states
v_accvgpr_write_b32 acc147, v5                     // 
v_accvgpr_write_b32 acc151, v6                     // 
v_accvgpr_read_b32 v5, acc168                      // glvw 2 mb 0 tt1 40 r 0
v_accvgpr_read_b32 v6, acc172                      // glvw 2 mb 0 tt1 40 r 0
s_nop 1                                            // v_accvgpr read vgpr after write vgpr: 2 wait states
v_accvgpr_write_b32 acc160, v5                     // 
v_accvgpr_write_b32 acc164, v6                     // 
v_accvgpr_read_b32 v5, acc184                      // glvw 2 mb 0 tt1 41 r 0
v_accvgpr_read_b32 v6, acc188                      // glvw 2 mb 0 tt1 41 r 0
s_nop 1                                            // v_accvgpr read vgpr after write vgpr: 2 wait states
v_accvgpr_write_b32 acc176, v5                     // 
v_accvgpr_write_b32 acc180, v6                     // 
v_accvgpr_read_b32 v5, acc169                      // glvw 2 mb 0 tt1 42 r 0
v_accvgpr_read_b32 v6, acc173                      // glvw 2 mb 0 tt1 42 r 0
s_nop 1                                            // v_accvgpr read vgpr after write vgpr: 2 wait states
v_accvgpr_write_b32 acc161, v5                     // 
v_accvgpr_write_b32 acc165, v6                     // 
v_accvgpr_read_b32 v5, acc185                      // glvw 2 mb 0 tt1 43 r 0
v_accvgpr_read_b32 v6, acc189                      // glvw 2 mb 0 tt1 43 r 0
s_nop 1                                            // v_accvgpr read vgpr after write vgpr: 2 wait states
v_accvgpr_write_b32 acc177, v5                     // 
v_accvgpr_write_b32 acc181, v6                     // 
v_accvgpr_read_b32 v5, acc170                      // glvw 2 mb 0 tt1 44 r 0
v_accvgpr_read_b32 v6, acc174                      // glvw 2 mb 0 tt1 44 r 0
s_nop 1                                            // v_accvgpr read vgpr after write vgpr: 2 wait states
v_accvgpr_write_b32 acc162, v5                     // 
v_accvgpr_write_b32 acc166, v6                     // 
v_accvgpr_read_b32 v5, acc186                      // glvw 2 mb 0 tt1 45 r 0
v_accvgpr_read_b32 v6, acc190                      // glvw 2 mb 0 tt1 45 r 0
s_nop 1                                            // v_accvgpr read vgpr after write vgpr: 2 wait states
v_accvgpr_write_b32 acc178, v5                     // 
v_accvgpr_write_b32 acc182, v6                     // 
v_accvgpr_read_b32 v5, acc171                      // glvw 2 mb 0 tt1 46 r 0
v_accvgpr_read_b32 v6, acc175                      // glvw 2 mb 0 tt1 46 r 0
s_nop 1                                            // v_accvgpr read vgpr after write vgpr: 2 wait states
v_accvgpr_write_b32 acc163, v5                     // 
v_accvgpr_write_b32 acc167, v6                     // 
v_accvgpr_read_b32 v5, acc187                      // glvw 2 mb 0 tt1 47 r 0
v_accvgpr_read_b32 v6, acc191                      // glvw 2 mb 0 tt1 47 r 0
s_nop 1                                            // v_accvgpr read vgpr after write vgpr: 2 wait states
v_accvgpr_write_b32 acc179, v5                     // 
v_accvgpr_write_b32 acc183, v6                     // 
v_accvgpr_read_b32 v5, acc200                      // glvw 2 mb 0 tt1 48 r 0
v_accvgpr_read_b32 v6, acc204                      // glvw 2 mb 0 tt1 48 r 0
s_nop 1                                            // v_accvgpr read vgpr after write vgpr: 2 wait states
v_accvgpr_write_b32 acc192, v5                     // 
v_accvgpr_write_b32 acc196, v6                     // 
v_accvgpr_read_b32 v5, acc216                      // glvw 2 mb 0 tt1 49 r 0
v_accvgpr_read_b32 v6, acc220                      // glvw 2 mb 0 tt1 49 r 0
s_nop 1                                            // v_accvgpr read vgpr after write vgpr: 2 wait states
v_accvgpr_write_b32 acc208, v5                     // 
v_accvgpr_write_b32 acc212, v6                     // 
v_accvgpr_read_b32 v5, acc201                      // glvw 2 mb 0 tt1 50 r 0
v_accvgpr_read_b32 v6, acc205                      // glvw 2 mb 0 tt1 50 r 0
s_nop 1                                            // v_accvgpr read vgpr after write vgpr: 2 wait states
v_accvgpr_write_b32 acc193, v5                     // 
v_accvgpr_write_b32 acc197, v6                     // 
v_accvgpr_read_b32 v5, acc217                      // glvw 2 mb 0 tt1 51 r 0
v_accvgpr_read_b32 v6, acc221                      // glvw 2 mb 0 tt1 51 r 0
s_nop 1                                            // v_accvgpr read vgpr after write vgpr: 2 wait states
v_accvgpr_write_b32 acc209, v5                     // 
v_accvgpr_write_b32 acc213, v6                     // 
v_accvgpr_read_b32 v5, acc202                      // glvw 2 mb 0 tt1 52 r 0
v_accvgpr_read_b32 v6, acc206                      // glvw 2 mb 0 tt1 52 r 0
s_nop 1                                            // v_accvgpr read vgpr after write vgpr: 2 wait states
v_accvgpr_write_b32 acc194, v5                     // 
v_accvgpr_write_b32 acc198, v6                     // 
v_accvgpr_read_b32 v5, acc218                      // glvw 2 mb 0 tt1 53 r 0
v_accvgpr_read_b32 v6, acc222                      // glvw 2 mb 0 tt1 53 r 0
s_nop 1                                            // v_accvgpr read vgpr after write vgpr: 2 wait states
v_accvgpr_write_b32 acc210, v5                     // 
v_accvgpr_write_b32 acc214, v6                     // 
v_accvgpr_read_b32 v5, acc203                      // glvw 2 mb 0 tt1 54 r 0
v_accvgpr_read_b32 v6, acc207                      // glvw 2 mb 0 tt1 54 r 0
s_nop 1                                            // v_accvgpr read vgpr after write vgpr: 2 wait states
v_accvgpr_write_b32 acc195, v5                     // 
v_accvgpr_write_b32 acc199, v6                     // 
v_accvgpr_read_b32 v5, acc219                      // glvw 2 mb 0 tt1 55 r 0
v_accvgpr_read_b32 v6, acc223                      // glvw 2 mb 0 tt1 55 r 0
s_nop 1                                            // v_accvgpr read vgpr after write vgpr: 2 wait states
v_accvgpr_write_b32 acc211, v5                     // 
v_accvgpr_write_b32 acc215, v6                     // 
v_accvgpr_read_b32 v5, acc232                      // glvw 2 mb 0 tt1 56 r 0
v_accvgpr_read_b32 v6, acc236                      // glvw 2 mb 0 tt1 56 r 0
s_nop 1                                            // v_accvgpr read vgpr after write vgpr: 2 wait states
v_accvgpr_write_b32 acc224, v5                     // 
v_accvgpr_write_b32 acc228, v6                     // 
v_accvgpr_read_b32 v5, acc248                      // glvw 2 mb 0 tt1 57 r 0
v_accvgpr_read_b32 v6, acc252                      // glvw 2 mb 0 tt1 57 r 0
s_nop 1                                            // v_accvgpr read vgpr after write vgpr: 2 wait states
v_accvgpr_write_b32 acc240, v5                     // 
v_accvgpr_write_b32 acc244, v6                     // 
v_accvgpr_read_b32 v5, acc233                      // glvw 2 mb 0 tt1 58 r 0
v_accvgpr_read_b32 v6, acc237                      // glvw 2 mb 0 tt1 58 r 0
s_nop 1                                            // v_accvgpr read vgpr after write vgpr: 2 wait states
v_accvgpr_write_b32 acc225, v5                     // 
v_accvgpr_write_b32 acc229, v6                     // 
v_accvgpr_read_b32 v5, acc249                      // glvw 2 mb 0 tt1 59 r 0
v_accvgpr_read_b32 v6, acc253                      // glvw 2 mb 0 tt1 59 r 0
s_nop 1                                            // v_accvgpr read vgpr after write vgpr: 2 wait states
v_accvgpr_write_b32 acc241, v5                     // 
v_accvgpr_write_b32 acc245, v6                     // 
v_accvgpr_read_b32 v5, acc234                      // glvw 2 mb 0 tt1 60 r 0
v_accvgpr_read_b32 v6, acc238                      // glvw 2 mb 0 tt1 60 r 0
s_nop 1                                            // v_accvgpr read vgpr after write vgpr: 2 wait states
v_accvgpr_write_b32 acc226, v5                     // 
v_accvgpr_write_b32 acc230, v6                     // 
v_accvgpr_read_b32 v5, acc250                      // glvw 2 mb 0 tt1 61 r 0
v_accvgpr_read_b32 v6, acc254                      // glvw 2 mb 0 tt1 61 r 0
s_nop 1                                            // v_accvgpr read vgpr after write vgpr: 2 wait states
v_accvgpr_write_b32 acc242, v5                     // 
v_accvgpr_write_b32 acc246, v6                     // 
v_accvgpr_read_b32 v5, acc235                      // glvw 2 mb 0 tt1 62 r 0
v_accvgpr_read_b32 v6, acc239                      // glvw 2 mb 0 tt1 62 r 0
s_nop 1                                            // v_accvgpr read vgpr after write vgpr: 2 wait states
v_accvgpr_write_b32 acc227, v5                     // 
v_accvgpr_write_b32 acc231, v6                     // 
v_accvgpr_read_b32 v5, acc251                      // glvw 2 mb 0 tt1 63 r 0
v_accvgpr_read_b32 v6, acc255                      // glvw 2 mb 0 tt1 63 r 0
s_nop 1                                            // v_accvgpr read vgpr after write vgpr: 2 wait states
v_accvgpr_write_b32 acc243, v5                     // 
v_accvgpr_write_b32 acc247, v6                     // 
s_mov_b64 s[34:35], 0xFFFFFFFFFFFFFFFF             // to restore all threads active
s_or_saveexec_b64 vcc, s[34:35]                    // all threads active
s_branch label_0042                                // done shifting


/******************************************/
/* shift d0 r=3 mb=0 vw0                  */
/******************************************/
label_0041: // r3 mb0 vw0 
s_mov_b32 s34, 0                                   // 
_v_cmpx_eq_u32 s[34:35], v4, s34                   // is thread in edge glvw region
v_and_b32 v0, 63, v[vgprSerial]                    // permute register between threads
v_lshlrev_b32 v0, 2, v0                            // permute register between threads
v_accvgpr_read_b32 v5, acc4                        // glvw 3 mb 0 tt1 0 r 0
v_accvgpr_read_b32 v6, acc8                        // glvw 3 mb 0 tt1 0 r 0
v_accvgpr_read_b32 v7, acc12                       // glvw 3 mb 0 tt1 0 r 0
s_nop 1                                            // v_accvgpr read vgpr after write vgpr: 2 wait states
v_accvgpr_write_b32 acc0, v5                       // 
v_accvgpr_write_b32 acc4, v6                       // 
v_accvgpr_write_b32 acc8, v7                       // 
v_accvgpr_read_b32 v5, acc20                       // glvw 3 mb 0 tt1 1 r 0
v_accvgpr_read_b32 v6, acc24                       // glvw 3 mb 0 tt1 1 r 0
v_accvgpr_read_b32 v7, acc28                       // glvw 3 mb 0 tt1 1 r 0
s_nop 1                                            // v_accvgpr read vgpr after write vgpr: 2 wait states
v_accvgpr_write_b32 acc16, v5                      // 
v_accvgpr_write_b32 acc20, v6                      // 
v_accvgpr_write_b32 acc24, v7                      // 
v_accvgpr_read_b32 v5, acc5                        // glvw 3 mb 0 tt1 2 r 0
v_accvgpr_read_b32 v6, acc9                        // glvw 3 mb 0 tt1 2 r 0
v_accvgpr_read_b32 v7, acc13                       // glvw 3 mb 0 tt1 2 r 0
s_nop 1                                            // v_accvgpr read vgpr after write vgpr: 2 wait states
v_accvgpr_write_b32 acc1, v5                       // 
v_accvgpr_write_b32 acc5, v6                       // 
v_accvgpr_write_b32 acc9, v7                       // 
v_accvgpr_read_b32 v5, acc21                       // glvw 3 mb 0 tt1 3 r 0
v_accvgpr_read_b32 v6, acc25                       // glvw 3 mb 0 tt1 3 r 0
v_accvgpr_read_b32 v7, acc29                       // glvw 3 mb 0 tt1 3 r 0
s_nop 1                                            // v_accvgpr read vgpr after write vgpr: 2 wait states
v_accvgpr_write_b32 acc17, v5                      // 
v_accvgpr_write_b32 acc21, v6                      // 
v_accvgpr_write_b32 acc25, v7                      // 
v_accvgpr_read_b32 v5, acc6                        // glvw 3 mb 0 tt1 4 r 0
v_accvgpr_read_b32 v6, acc10                       // glvw 3 mb 0 tt1 4 r 0
v_accvgpr_read_b32 v7, acc14                       // glvw 3 mb 0 tt1 4 r 0
s_nop 1                                            // v_accvgpr read vgpr after write vgpr: 2 wait states
v_accvgpr_write_b32 acc2, v5                       // 
v_accvgpr_write_b32 acc6, v6                       // 
v_accvgpr_write_b32 acc10, v7                      // 
v_accvgpr_read_b32 v5, acc22                       // glvw 3 mb 0 tt1 5 r 0
v_accvgpr_read_b32 v6, acc26                       // glvw 3 mb 0 tt1 5 r 0
v_accvgpr_read_b32 v7, acc30                       // glvw 3 mb 0 tt1 5 r 0
s_nop 1                                            // v_accvgpr read vgpr after write vgpr: 2 wait states
v_accvgpr_write_b32 acc18, v5                      // 
v_accvgpr_write_b32 acc22, v6                      // 
v_accvgpr_write_b32 acc26, v7                      // 
v_accvgpr_read_b32 v5, acc7                        // glvw 3 mb 0 tt1 6 r 0
v_accvgpr_read_b32 v6, acc11                       // glvw 3 mb 0 tt1 6 r 0
v_accvgpr_read_b32 v7, acc15                       // glvw 3 mb 0 tt1 6 r 0
s_nop 1                                            // v_accvgpr read vgpr after write vgpr: 2 wait states
v_accvgpr_write_b32 acc3, v5                       // 
v_accvgpr_write_b32 acc7, v6                       // 
v_accvgpr_write_b32 acc11, v7                      // 
v_accvgpr_read_b32 v5, acc23                       // glvw 3 mb 0 tt1 7 r 0
v_accvgpr_read_b32 v6, acc27                       // glvw 3 mb 0 tt1 7 r 0
v_accvgpr_read_b32 v7, acc31                       // glvw 3 mb 0 tt1 7 r 0
s_nop 1                                            // v_accvgpr read vgpr after write vgpr: 2 wait states
v_accvgpr_write_b32 acc19, v5                      // 
v_accvgpr_write_b32 acc23, v6                      // 
v_accvgpr_write_b32 acc27, v7                      // 
v_accvgpr_read_b32 v5, acc36                       // glvw 3 mb 0 tt1 8 r 0
v_accvgpr_read_b32 v6, acc40                       // glvw 3 mb 0 tt1 8 r 0
v_accvgpr_read_b32 v7, acc44                       // glvw 3 mb 0 tt1 8 r 0
s_nop 1                                            // v_accvgpr read vgpr after write vgpr: 2 wait states
v_accvgpr_write_b32 acc32, v5                      // 
v_accvgpr_write_b32 acc36, v6                      // 
v_accvgpr_write_b32 acc40, v7                      // 
v_accvgpr_read_b32 v5, acc52                       // glvw 3 mb 0 tt1 9 r 0
v_accvgpr_read_b32 v6, acc56                       // glvw 3 mb 0 tt1 9 r 0
v_accvgpr_read_b32 v7, acc60                       // glvw 3 mb 0 tt1 9 r 0
s_nop 1                                            // v_accvgpr read vgpr after write vgpr: 2 wait states
v_accvgpr_write_b32 acc48, v5                      // 
v_accvgpr_write_b32 acc52, v6                      // 
v_accvgpr_write_b32 acc56, v7                      // 
v_accvgpr_read_b32 v5, acc37                       // glvw 3 mb 0 tt1 10 r 0
v_accvgpr_read_b32 v6, acc41                       // glvw 3 mb 0 tt1 10 r 0
v_accvgpr_read_b32 v7, acc45                       // glvw 3 mb 0 tt1 10 r 0
s_nop 1                                            // v_accvgpr read vgpr after write vgpr: 2 wait states
v_accvgpr_write_b32 acc33, v5                      // 
v_accvgpr_write_b32 acc37, v6                      // 
v_accvgpr_write_b32 acc41, v7                      // 
v_accvgpr_read_b32 v5, acc53                       // glvw 3 mb 0 tt1 11 r 0
v_accvgpr_read_b32 v6, acc57                       // glvw 3 mb 0 tt1 11 r 0
v_accvgpr_read_b32 v7, acc61                       // glvw 3 mb 0 tt1 11 r 0
s_nop 1                                            // v_accvgpr read vgpr after write vgpr: 2 wait states
v_accvgpr_write_b32 acc49, v5                      // 
v_accvgpr_write_b32 acc53, v6                      // 
v_accvgpr_write_b32 acc57, v7                      // 
v_accvgpr_read_b32 v5, acc38                       // glvw 3 mb 0 tt1 12 r 0
v_accvgpr_read_b32 v6, acc42                       // glvw 3 mb 0 tt1 12 r 0
v_accvgpr_read_b32 v7, acc46                       // glvw 3 mb 0 tt1 12 r 0
s_nop 1                                            // v_accvgpr read vgpr after write vgpr: 2 wait states
v_accvgpr_write_b32 acc34, v5                      // 
v_accvgpr_write_b32 acc38, v6                      // 
v_accvgpr_write_b32 acc42, v7                      // 
v_accvgpr_read_b32 v5, acc54                       // glvw 3 mb 0 tt1 13 r 0
v_accvgpr_read_b32 v6, acc58                       // glvw 3 mb 0 tt1 13 r 0
v_accvgpr_read_b32 v7, acc62                       // glvw 3 mb 0 tt1 13 r 0
s_nop 1                                            // v_accvgpr read vgpr after write vgpr: 2 wait states
v_accvgpr_write_b32 acc50, v5                      // 
v_accvgpr_write_b32 acc54, v6                      // 
v_accvgpr_write_b32 acc58, v7                      // 
v_accvgpr_read_b32 v5, acc39                       // glvw 3 mb 0 tt1 14 r 0
v_accvgpr_read_b32 v6, acc43                       // glvw 3 mb 0 tt1 14 r 0
v_accvgpr_read_b32 v7, acc47                       // glvw 3 mb 0 tt1 14 r 0
s_nop 1                                            // v_accvgpr read vgpr after write vgpr: 2 wait states
v_accvgpr_write_b32 acc35, v5                      // 
v_accvgpr_write_b32 acc39, v6                      // 
v_accvgpr_write_b32 acc43, v7                      // 
v_accvgpr_read_b32 v5, acc55                       // glvw 3 mb 0 tt1 15 r 0
v_accvgpr_read_b32 v6, acc59                       // glvw 3 mb 0 tt1 15 r 0
v_accvgpr_read_b32 v7, acc63                       // glvw 3 mb 0 tt1 15 r 0
s_nop 1                                            // v_accvgpr read vgpr after write vgpr: 2 wait states
v_accvgpr_write_b32 acc51, v5                      // 
v_accvgpr_write_b32 acc55, v6                      // 
v_accvgpr_write_b32 acc59, v7                      // 
v_accvgpr_read_b32 v5, acc68                       // glvw 3 mb 0 tt1 16 r 0
v_accvgpr_read_b32 v6, acc72                       // glvw 3 mb 0 tt1 16 r 0
v_accvgpr_read_b32 v7, acc76                       // glvw 3 mb 0 tt1 16 r 0
s_nop 1                                            // v_accvgpr read vgpr after write vgpr: 2 wait states
v_accvgpr_write_b32 acc64, v5                      // 
v_accvgpr_write_b32 acc68, v6                      // 
v_accvgpr_write_b32 acc72, v7                      // 
v_accvgpr_read_b32 v5, acc84                       // glvw 3 mb 0 tt1 17 r 0
v_accvgpr_read_b32 v6, acc88                       // glvw 3 mb 0 tt1 17 r 0
v_accvgpr_read_b32 v7, acc92                       // glvw 3 mb 0 tt1 17 r 0
s_nop 1                                            // v_accvgpr read vgpr after write vgpr: 2 wait states
v_accvgpr_write_b32 acc80, v5                      // 
v_accvgpr_write_b32 acc84, v6                      // 
v_accvgpr_write_b32 acc88, v7                      // 
v_accvgpr_read_b32 v5, acc69                       // glvw 3 mb 0 tt1 18 r 0
v_accvgpr_read_b32 v6, acc73                       // glvw 3 mb 0 tt1 18 r 0
v_accvgpr_read_b32 v7, acc77                       // glvw 3 mb 0 tt1 18 r 0
s_nop 1                                            // v_accvgpr read vgpr after write vgpr: 2 wait states
v_accvgpr_write_b32 acc65, v5                      // 
v_accvgpr_write_b32 acc69, v6                      // 
v_accvgpr_write_b32 acc73, v7                      // 
v_accvgpr_read_b32 v5, acc85                       // glvw 3 mb 0 tt1 19 r 0
v_accvgpr_read_b32 v6, acc89                       // glvw 3 mb 0 tt1 19 r 0
v_accvgpr_read_b32 v7, acc93                       // glvw 3 mb 0 tt1 19 r 0
s_nop 1                                            // v_accvgpr read vgpr after write vgpr: 2 wait states
v_accvgpr_write_b32 acc81, v5                      // 
v_accvgpr_write_b32 acc85, v6                      // 
v_accvgpr_write_b32 acc89, v7                      // 
v_accvgpr_read_b32 v5, acc70                       // glvw 3 mb 0 tt1 20 r 0
v_accvgpr_read_b32 v6, acc74                       // glvw 3 mb 0 tt1 20 r 0
v_accvgpr_read_b32 v7, acc78                       // glvw 3 mb 0 tt1 20 r 0
s_nop 1                                            // v_accvgpr read vgpr after write vgpr: 2 wait states
v_accvgpr_write_b32 acc66, v5                      // 
v_accvgpr_write_b32 acc70, v6                      // 
v_accvgpr_write_b32 acc74, v7                      // 
v_accvgpr_read_b32 v5, acc86                       // glvw 3 mb 0 tt1 21 r 0
v_accvgpr_read_b32 v6, acc90                       // glvw 3 mb 0 tt1 21 r 0
v_accvgpr_read_b32 v7, acc94                       // glvw 3 mb 0 tt1 21 r 0
s_nop 1                                            // v_accvgpr read vgpr after write vgpr: 2 wait states
v_accvgpr_write_b32 acc82, v5                      // 
v_accvgpr_write_b32 acc86, v6                      // 
v_accvgpr_write_b32 acc90, v7                      // 
v_accvgpr_read_b32 v5, acc71                       // glvw 3 mb 0 tt1 22 r 0
v_accvgpr_read_b32 v6, acc75                       // glvw 3 mb 0 tt1 22 r 0
v_accvgpr_read_b32 v7, acc79                       // glvw 3 mb 0 tt1 22 r 0
s_nop 1                                            // v_accvgpr read vgpr after write vgpr: 2 wait states
v_accvgpr_write_b32 acc67, v5                      // 
v_accvgpr_write_b32 acc71, v6                      // 
v_accvgpr_write_b32 acc75, v7                      // 
v_accvgpr_read_b32 v5, acc87                       // glvw 3 mb 0 tt1 23 r 0
v_accvgpr_read_b32 v6, acc91                       // glvw 3 mb 0 tt1 23 r 0
v_accvgpr_read_b32 v7, acc95                       // glvw 3 mb 0 tt1 23 r 0
s_nop 1                                            // v_accvgpr read vgpr after write vgpr: 2 wait states
v_accvgpr_write_b32 acc83, v5                      // 
v_accvgpr_write_b32 acc87, v6                      // 
v_accvgpr_write_b32 acc91, v7                      // 
v_accvgpr_read_b32 v5, acc100                      // glvw 3 mb 0 tt1 24 r 0
v_accvgpr_read_b32 v6, acc104                      // glvw 3 mb 0 tt1 24 r 0
v_accvgpr_read_b32 v7, acc108                      // glvw 3 mb 0 tt1 24 r 0
s_nop 1                                            // v_accvgpr read vgpr after write vgpr: 2 wait states
v_accvgpr_write_b32 acc96, v5                      // 
v_accvgpr_write_b32 acc100, v6                     // 
v_accvgpr_write_b32 acc104, v7                     // 
v_accvgpr_read_b32 v5, acc116                      // glvw 3 mb 0 tt1 25 r 0
v_accvgpr_read_b32 v6, acc120                      // glvw 3 mb 0 tt1 25 r 0
v_accvgpr_read_b32 v7, acc124                      // glvw 3 mb 0 tt1 25 r 0
s_nop 1                                            // v_accvgpr read vgpr after write vgpr: 2 wait states
v_accvgpr_write_b32 acc112, v5                     // 
v_accvgpr_write_b32 acc116, v6                     // 
v_accvgpr_write_b32 acc120, v7                     // 
v_accvgpr_read_b32 v5, acc101                      // glvw 3 mb 0 tt1 26 r 0
v_accvgpr_read_b32 v6, acc105                      // glvw 3 mb 0 tt1 26 r 0
v_accvgpr_read_b32 v7, acc109                      // glvw 3 mb 0 tt1 26 r 0
s_nop 1                                            // v_accvgpr read vgpr after write vgpr: 2 wait states
v_accvgpr_write_b32 acc97, v5                      // 
v_accvgpr_write_b32 acc101, v6                     // 
v_accvgpr_write_b32 acc105, v7                     // 
v_accvgpr_read_b32 v5, acc117                      // glvw 3 mb 0 tt1 27 r 0
v_accvgpr_read_b32 v6, acc121                      // glvw 3 mb 0 tt1 27 r 0
v_accvgpr_read_b32 v7, acc125                      // glvw 3 mb 0 tt1 27 r 0
s_nop 1                                            // v_accvgpr read vgpr after write vgpr: 2 wait states
v_accvgpr_write_b32 acc113, v5                     // 
v_accvgpr_write_b32 acc117, v6                     // 
v_accvgpr_write_b32 acc121, v7                     // 
v_accvgpr_read_b32 v5, acc102                      // glvw 3 mb 0 tt1 28 r 0
v_accvgpr_read_b32 v6, acc106                      // glvw 3 mb 0 tt1 28 r 0
v_accvgpr_read_b32 v7, acc110                      // glvw 3 mb 0 tt1 28 r 0
s_nop 1                                            // v_accvgpr read vgpr after write vgpr: 2 wait states
v_accvgpr_write_b32 acc98, v5                      // 
v_accvgpr_write_b32 acc102, v6                     // 
v_accvgpr_write_b32 acc106, v7                     // 
v_accvgpr_read_b32 v5, acc118                      // glvw 3 mb 0 tt1 29 r 0
v_accvgpr_read_b32 v6, acc122                      // glvw 3 mb 0 tt1 29 r 0
v_accvgpr_read_b32 v7, acc126                      // glvw 3 mb 0 tt1 29 r 0
s_nop 1                                            // v_accvgpr read vgpr after write vgpr: 2 wait states
v_accvgpr_write_b32 acc114, v5                     // 
v_accvgpr_write_b32 acc118, v6                     // 
v_accvgpr_write_b32 acc122, v7                     // 
v_accvgpr_read_b32 v5, acc103                      // glvw 3 mb 0 tt1 30 r 0
v_accvgpr_read_b32 v6, acc107                      // glvw 3 mb 0 tt1 30 r 0
v_accvgpr_read_b32 v7, acc111                      // glvw 3 mb 0 tt1 30 r 0
s_nop 1                                            // v_accvgpr read vgpr after write vgpr: 2 wait states
v_accvgpr_write_b32 acc99, v5                      // 
v_accvgpr_write_b32 acc103, v6                     // 
v_accvgpr_write_b32 acc107, v7                     // 
v_accvgpr_read_b32 v5, acc119                      // glvw 3 mb 0 tt1 31 r 0
v_accvgpr_read_b32 v6, acc123                      // glvw 3 mb 0 tt1 31 r 0
v_accvgpr_read_b32 v7, acc127                      // glvw 3 mb 0 tt1 31 r 0
s_nop 1                                            // v_accvgpr read vgpr after write vgpr: 2 wait states
v_accvgpr_write_b32 acc115, v5                     // 
v_accvgpr_write_b32 acc119, v6                     // 
v_accvgpr_write_b32 acc123, v7                     // 
v_accvgpr_read_b32 v5, acc132                      // glvw 3 mb 0 tt1 32 r 0
v_accvgpr_read_b32 v6, acc136                      // glvw 3 mb 0 tt1 32 r 0
v_accvgpr_read_b32 v7, acc140                      // glvw 3 mb 0 tt1 32 r 0
s_nop 1                                            // v_accvgpr read vgpr after write vgpr: 2 wait states
v_accvgpr_write_b32 acc128, v5                     // 
v_accvgpr_write_b32 acc132, v6                     // 
v_accvgpr_write_b32 acc136, v7                     // 
v_accvgpr_read_b32 v5, acc148                      // glvw 3 mb 0 tt1 33 r 0
v_accvgpr_read_b32 v6, acc152                      // glvw 3 mb 0 tt1 33 r 0
v_accvgpr_read_b32 v7, acc156                      // glvw 3 mb 0 tt1 33 r 0
s_nop 1                                            // v_accvgpr read vgpr after write vgpr: 2 wait states
v_accvgpr_write_b32 acc144, v5                     // 
v_accvgpr_write_b32 acc148, v6                     // 
v_accvgpr_write_b32 acc152, v7                     // 
v_accvgpr_read_b32 v5, acc133                      // glvw 3 mb 0 tt1 34 r 0
v_accvgpr_read_b32 v6, acc137                      // glvw 3 mb 0 tt1 34 r 0
v_accvgpr_read_b32 v7, acc141                      // glvw 3 mb 0 tt1 34 r 0
s_nop 1                                            // v_accvgpr read vgpr after write vgpr: 2 wait states
v_accvgpr_write_b32 acc129, v5                     // 
v_accvgpr_write_b32 acc133, v6                     // 
v_accvgpr_write_b32 acc137, v7                     // 
v_accvgpr_read_b32 v5, acc149                      // glvw 3 mb 0 tt1 35 r 0
v_accvgpr_read_b32 v6, acc153                      // glvw 3 mb 0 tt1 35 r 0
v_accvgpr_read_b32 v7, acc157                      // glvw 3 mb 0 tt1 35 r 0
s_nop 1                                            // v_accvgpr read vgpr after write vgpr: 2 wait states
v_accvgpr_write_b32 acc145, v5                     // 
v_accvgpr_write_b32 acc149, v6                     // 
v_accvgpr_write_b32 acc153, v7                     // 
v_accvgpr_read_b32 v5, acc134                      // glvw 3 mb 0 tt1 36 r 0
v_accvgpr_read_b32 v6, acc138                      // glvw 3 mb 0 tt1 36 r 0
v_accvgpr_read_b32 v7, acc142                      // glvw 3 mb 0 tt1 36 r 0
s_nop 1                                            // v_accvgpr read vgpr after write vgpr: 2 wait states
v_accvgpr_write_b32 acc130, v5                     // 
v_accvgpr_write_b32 acc134, v6                     // 
v_accvgpr_write_b32 acc138, v7                     // 
v_accvgpr_read_b32 v5, acc150                      // glvw 3 mb 0 tt1 37 r 0
v_accvgpr_read_b32 v6, acc154                      // glvw 3 mb 0 tt1 37 r 0
v_accvgpr_read_b32 v7, acc158                      // glvw 3 mb 0 tt1 37 r 0
s_nop 1                                            // v_accvgpr read vgpr after write vgpr: 2 wait states
v_accvgpr_write_b32 acc146, v5                     // 
v_accvgpr_write_b32 acc150, v6                     // 
v_accvgpr_write_b32 acc154, v7                     // 
v_accvgpr_read_b32 v5, acc135                      // glvw 3 mb 0 tt1 38 r 0
v_accvgpr_read_b32 v6, acc139                      // glvw 3 mb 0 tt1 38 r 0
v_accvgpr_read_b32 v7, acc143                      // glvw 3 mb 0 tt1 38 r 0
s_nop 1                                            // v_accvgpr read vgpr after write vgpr: 2 wait states
v_accvgpr_write_b32 acc131, v5                     // 
v_accvgpr_write_b32 acc135, v6                     // 
v_accvgpr_write_b32 acc139, v7                     // 
v_accvgpr_read_b32 v5, acc151                      // glvw 3 mb 0 tt1 39 r 0
v_accvgpr_read_b32 v6, acc155                      // glvw 3 mb 0 tt1 39 r 0
v_accvgpr_read_b32 v7, acc159                      // glvw 3 mb 0 tt1 39 r 0
s_nop 1                                            // v_accvgpr read vgpr after write vgpr: 2 wait states
v_accvgpr_write_b32 acc147, v5                     // 
v_accvgpr_write_b32 acc151, v6                     // 
v_accvgpr_write_b32 acc155, v7                     // 
v_accvgpr_read_b32 v5, acc164                      // glvw 3 mb 0 tt1 40 r 0
v_accvgpr_read_b32 v6, acc168                      // glvw 3 mb 0 tt1 40 r 0
v_accvgpr_read_b32 v7, acc172                      // glvw 3 mb 0 tt1 40 r 0
s_nop 1                                            // v_accvgpr read vgpr after write vgpr: 2 wait states
v_accvgpr_write_b32 acc160, v5                     // 
v_accvgpr_write_b32 acc164, v6                     // 
v_accvgpr_write_b32 acc168, v7                     // 
v_accvgpr_read_b32 v5, acc180                      // glvw 3 mb 0 tt1 41 r 0
v_accvgpr_read_b32 v6, acc184                      // glvw 3 mb 0 tt1 41 r 0
v_accvgpr_read_b32 v7, acc188                      // glvw 3 mb 0 tt1 41 r 0
s_nop 1                                            // v_accvgpr read vgpr after write vgpr: 2 wait states
v_accvgpr_write_b32 acc176, v5                     // 
v_accvgpr_write_b32 acc180, v6                     // 
v_accvgpr_write_b32 acc184, v7                     // 
v_accvgpr_read_b32 v5, acc165                      // glvw 3 mb 0 tt1 42 r 0
v_accvgpr_read_b32 v6, acc169                      // glvw 3 mb 0 tt1 42 r 0
v_accvgpr_read_b32 v7, acc173                      // glvw 3 mb 0 tt1 42 r 0
s_nop 1                                            // v_accvgpr read vgpr after write vgpr: 2 wait states
v_accvgpr_write_b32 acc161, v5                     // 
v_accvgpr_write_b32 acc165, v6                     // 
v_accvgpr_write_b32 acc169, v7                     // 
v_accvgpr_read_b32 v5, acc181                      // glvw 3 mb 0 tt1 43 r 0
v_accvgpr_read_b32 v6, acc185                      // glvw 3 mb 0 tt1 43 r 0
v_accvgpr_read_b32 v7, acc189                      // glvw 3 mb 0 tt1 43 r 0
s_nop 1                                            // v_accvgpr read vgpr after write vgpr: 2 wait states
v_accvgpr_write_b32 acc177, v5                     // 
v_accvgpr_write_b32 acc181, v6                     // 
v_accvgpr_write_b32 acc185, v7                     // 
v_accvgpr_read_b32 v5, acc166                      // glvw 3 mb 0 tt1 44 r 0
v_accvgpr_read_b32 v6, acc170                      // glvw 3 mb 0 tt1 44 r 0
v_accvgpr_read_b32 v7, acc174                      // glvw 3 mb 0 tt1 44 r 0
s_nop 1                                            // v_accvgpr read vgpr after write vgpr: 2 wait states
v_accvgpr_write_b32 acc162, v5                     // 
v_accvgpr_write_b32 acc166, v6                     // 
v_accvgpr_write_b32 acc170, v7                     // 
v_accvgpr_read_b32 v5, acc182                      // glvw 3 mb 0 tt1 45 r 0
v_accvgpr_read_b32 v6, acc186                      // glvw 3 mb 0 tt1 45 r 0
v_accvgpr_read_b32 v7, acc190                      // glvw 3 mb 0 tt1 45 r 0
s_nop 1                                            // v_accvgpr read vgpr after write vgpr: 2 wait states
v_accvgpr_write_b32 acc178, v5                     // 
v_accvgpr_write_b32 acc182, v6                     // 
v_accvgpr_write_b32 acc186, v7                     // 
v_accvgpr_read_b32 v5, acc167                      // glvw 3 mb 0 tt1 46 r 0
v_accvgpr_read_b32 v6, acc171                      // glvw 3 mb 0 tt1 46 r 0
v_accvgpr_read_b32 v7, acc175                      // glvw 3 mb 0 tt1 46 r 0
s_nop 1                                            // v_accvgpr read vgpr after write vgpr: 2 wait states
v_accvgpr_write_b32 acc163, v5                     // 
v_accvgpr_write_b32 acc167, v6                     // 
v_accvgpr_write_b32 acc171, v7                     // 
v_accvgpr_read_b32 v5, acc183                      // glvw 3 mb 0 tt1 47 r 0
v_accvgpr_read_b32 v6, acc187                      // glvw 3 mb 0 tt1 47 r 0
v_accvgpr_read_b32 v7, acc191                      // glvw 3 mb 0 tt1 47 r 0
s_nop 1                                            // v_accvgpr read vgpr after write vgpr: 2 wait states
v_accvgpr_write_b32 acc179, v5                     // 
v_accvgpr_write_b32 acc183, v6                     // 
v_accvgpr_write_b32 acc187, v7                     // 
v_accvgpr_read_b32 v5, acc196                      // glvw 3 mb 0 tt1 48 r 0
v_accvgpr_read_b32 v6, acc200                      // glvw 3 mb 0 tt1 48 r 0
v_accvgpr_read_b32 v7, acc204                      // glvw 3 mb 0 tt1 48 r 0
s_nop 1                                            // v_accvgpr read vgpr after write vgpr: 2 wait states
v_accvgpr_write_b32 acc192, v5                     // 
v_accvgpr_write_b32 acc196, v6                     // 
v_accvgpr_write_b32 acc200, v7                     // 
v_accvgpr_read_b32 v5, acc212                      // glvw 3 mb 0 tt1 49 r 0
v_accvgpr_read_b32 v6, acc216                      // glvw 3 mb 0 tt1 49 r 0
v_accvgpr_read_b32 v7, acc220                      // glvw 3 mb 0 tt1 49 r 0
s_nop 1                                            // v_accvgpr read vgpr after write vgpr: 2 wait states
v_accvgpr_write_b32 acc208, v5                     // 
v_accvgpr_write_b32 acc212, v6                     // 
v_accvgpr_write_b32 acc216, v7                     // 
v_accvgpr_read_b32 v5, acc197                      // glvw 3 mb 0 tt1 50 r 0
v_accvgpr_read_b32 v6, acc201                      // glvw 3 mb 0 tt1 50 r 0
v_accvgpr_read_b32 v7, acc205                      // glvw 3 mb 0 tt1 50 r 0
s_nop 1                                            // v_accvgpr read vgpr after write vgpr: 2 wait states
v_accvgpr_write_b32 acc193, v5                     // 
v_accvgpr_write_b32 acc197, v6                     // 
v_accvgpr_write_b32 acc201, v7                     // 
v_accvgpr_read_b32 v5, acc213                      // glvw 3 mb 0 tt1 51 r 0
v_accvgpr_read_b32 v6, acc217                      // glvw 3 mb 0 tt1 51 r 0
v_accvgpr_read_b32 v7, acc221                      // glvw 3 mb 0 tt1 51 r 0
s_nop 1                                            // v_accvgpr read vgpr after write vgpr: 2 wait states
v_accvgpr_write_b32 acc209, v5                     // 
v_accvgpr_write_b32 acc213, v6                     // 
v_accvgpr_write_b32 acc217, v7                     // 
v_accvgpr_read_b32 v5, acc198                      // glvw 3 mb 0 tt1 52 r 0
v_accvgpr_read_b32 v6, acc202                      // glvw 3 mb 0 tt1 52 r 0
v_accvgpr_read_b32 v7, acc206                      // glvw 3 mb 0 tt1 52 r 0
s_nop 1                                            // v_accvgpr read vgpr after write vgpr: 2 wait states
v_accvgpr_write_b32 acc194, v5                     // 
v_accvgpr_write_b32 acc198, v6                     // 
v_accvgpr_write_b32 acc202, v7                     // 
v_accvgpr_read_b32 v5, acc214                      // glvw 3 mb 0 tt1 53 r 0
v_accvgpr_read_b32 v6, acc218                      // glvw 3 mb 0 tt1 53 r 0
v_accvgpr_read_b32 v7, acc222                      // glvw 3 mb 0 tt1 53 r 0
s_nop 1                                            // v_accvgpr read vgpr after write vgpr: 2 wait states
v_accvgpr_write_b32 acc210, v5                     // 
v_accvgpr_write_b32 acc214, v6                     // 
v_accvgpr_write_b32 acc218, v7                     // 
v_accvgpr_read_b32 v5, acc199                      // glvw 3 mb 0 tt1 54 r 0
v_accvgpr_read_b32 v6, acc203                      // glvw 3 mb 0 tt1 54 r 0
v_accvgpr_read_b32 v7, acc207                      // glvw 3 mb 0 tt1 54 r 0
s_nop 1                                            // v_accvgpr read vgpr after write vgpr: 2 wait states
v_accvgpr_write_b32 acc195, v5                     // 
v_accvgpr_write_b32 acc199, v6                     // 
v_accvgpr_write_b32 acc203, v7                     // 
v_accvgpr_read_b32 v5, acc215                      // glvw 3 mb 0 tt1 55 r 0
v_accvgpr_read_b32 v6, acc219                      // glvw 3 mb 0 tt1 55 r 0
v_accvgpr_read_b32 v7, acc223                      // glvw 3 mb 0 tt1 55 r 0
s_nop 1                                            // v_accvgpr read vgpr after write vgpr: 2 wait states
v_accvgpr_write_b32 acc211, v5                     // 
v_accvgpr_write_b32 acc215, v6                     // 
v_accvgpr_write_b32 acc219, v7                     // 
v_accvgpr_read_b32 v5, acc228                      // glvw 3 mb 0 tt1 56 r 0
v_accvgpr_read_b32 v6, acc232                      // glvw 3 mb 0 tt1 56 r 0
v_accvgpr_read_b32 v7, acc236                      // glvw 3 mb 0 tt1 56 r 0
s_nop 1                                            // v_accvgpr read vgpr after write vgpr: 2 wait states
v_accvgpr_write_b32 acc224, v5                     // 
v_accvgpr_write_b32 acc228, v6                     // 
v_accvgpr_write_b32 acc232, v7                     // 
v_accvgpr_read_b32 v5, acc244                      // glvw 3 mb 0 tt1 57 r 0
v_accvgpr_read_b32 v6, acc248                      // glvw 3 mb 0 tt1 57 r 0
v_accvgpr_read_b32 v7, acc252                      // glvw 3 mb 0 tt1 57 r 0
s_nop 1                                            // v_accvgpr read vgpr after write vgpr: 2 wait states
v_accvgpr_write_b32 acc240, v5                     // 
v_accvgpr_write_b32 acc244, v6                     // 
v_accvgpr_write_b32 acc248, v7                     // 
v_accvgpr_read_b32 v5, acc229                      // glvw 3 mb 0 tt1 58 r 0
v_accvgpr_read_b32 v6, acc233                      // glvw 3 mb 0 tt1 58 r 0
v_accvgpr_read_b32 v7, acc237                      // glvw 3 mb 0 tt1 58 r 0
s_nop 1                                            // v_accvgpr read vgpr after write vgpr: 2 wait states
v_accvgpr_write_b32 acc225, v5                     // 
v_accvgpr_write_b32 acc229, v6                     // 
v_accvgpr_write_b32 acc233, v7                     // 
v_accvgpr_read_b32 v5, acc245                      // glvw 3 mb 0 tt1 59 r 0
v_accvgpr_read_b32 v6, acc249                      // glvw 3 mb 0 tt1 59 r 0
v_accvgpr_read_b32 v7, acc253                      // glvw 3 mb 0 tt1 59 r 0
s_nop 1                                            // v_accvgpr read vgpr after write vgpr: 2 wait states
v_accvgpr_write_b32 acc241, v5                     // 
v_accvgpr_write_b32 acc245, v6                     // 
v_accvgpr_write_b32 acc249, v7                     // 
v_accvgpr_read_b32 v5, acc230                      // glvw 3 mb 0 tt1 60 r 0
v_accvgpr_read_b32 v6, acc234                      // glvw 3 mb 0 tt1 60 r 0
v_accvgpr_read_b32 v7, acc238                      // glvw 3 mb 0 tt1 60 r 0
s_nop 1                                            // v_accvgpr read vgpr after write vgpr: 2 wait states
v_accvgpr_write_b32 acc226, v5                     // 
v_accvgpr_write_b32 acc230, v6                     // 
v_accvgpr_write_b32 acc234, v7                     // 
v_accvgpr_read_b32 v5, acc246                      // glvw 3 mb 0 tt1 61 r 0
v_accvgpr_read_b32 v6, acc250                      // glvw 3 mb 0 tt1 61 r 0
v_accvgpr_read_b32 v7, acc254                      // glvw 3 mb 0 tt1 61 r 0
s_nop 1                                            // v_accvgpr read vgpr after write vgpr: 2 wait states
v_accvgpr_write_b32 acc242, v5                     // 
v_accvgpr_write_b32 acc246, v6                     // 
v_accvgpr_write_b32 acc250, v7                     // 
v_accvgpr_read_b32 v5, acc231                      // glvw 3 mb 0 tt1 62 r 0
v_accvgpr_read_b32 v6, acc235                      // glvw 3 mb 0 tt1 62 r 0
v_accvgpr_read_b32 v7, acc239                      // glvw 3 mb 0 tt1 62 r 0
s_nop 1                                            // v_accvgpr read vgpr after write vgpr: 2 wait states
v_accvgpr_write_b32 acc227, v5                     // 
v_accvgpr_write_b32 acc231, v6                     // 
v_accvgpr_write_b32 acc235, v7                     // 
v_accvgpr_read_b32 v5, acc247                      // glvw 3 mb 0 tt1 63 r 0
v_accvgpr_read_b32 v6, acc251                      // glvw 3 mb 0 tt1 63 r 0
v_accvgpr_read_b32 v7, acc255                      // glvw 3 mb 0 tt1 63 r 0
s_nop 1                                            // v_accvgpr read vgpr after write vgpr: 2 wait states
v_accvgpr_write_b32 acc243, v5                     // 
v_accvgpr_write_b32 acc247, v6                     // 
v_accvgpr_write_b32 acc251, v7                     // 
s_mov_b64 s[34:35], 0xFFFFFFFFFFFFFFFF             // to restore all threads active
s_or_saveexec_b64 vcc, s[34:35]                    // all threads active
s_branch label_0042                                // done shifting

label_0042: // end shift0


	;; [unrolled: 1-line block ×3, first 2 shown]
/* not-LocalSplitU: global write indices */

/* computeStoreVgprs */
v_lshrrev_b32 v4, 6, v[vgprSerial]                 // v4 = v[vgprSerial] / 64
v_and_b32 v1, 63, v[vgprSerial]                    // v1 = v[vgprSerial] % 64
v_lshrrev_b32 v1, 4, v1                            // v1 = v1 / 16
v_lshlrev_b32 v1, 0x2, v1                          // thread0 * continuous_output
v_lshrrev_b32 v5, 2, v4                            // v5 = v4 / 4
v_mul_lo_u32 v5, 0x10, v5                          // wave coordination offset 1
_v_add_lshl_u32 v1, v5, v1, 1                      // coordination 1 = vwb *(wave_id1 + tid1)
v_mul_lo_u32 v2, v1, s[sgprStrideC1J]              //  offset 1
v_mul_lo_u32 v3, v1, s[sgprStrideD1J]              //  offset 1
v_and_b32 v5, 3, v4                                // v5 = v4 % 4
v_mul_lo_u32 v5, 0x10, v5                          // wave coordination offset 0
v_and_b32 v0, 15, v[vgprSerial]                    // v0 = v[vgprSerial] % 16
_v_add_lshl_u32 v0, v5, v0, 2                      // coordination 0 = vwa *(wave_id0 + tid0)
s_mul_i32 s33, 256, s[sgprWorkGroup0]              // wgp0 * MT0
_v_add_u32 v0, s33, v0                             // coord 0 = (tid0/MI_m)*4 + waveG0*MIB_m + MT0*SG0
s_mul_i32 s33, 256, s[sgprWorkGroup1]              // wgp1 * MT1
_v_add_u32 v1, s33, v1                             // coord 1 = (tid0%MI_m) + waveG1*MIB_n + MT1*SG1


/* not-LocalSplitU: global write */

s_cmpk_eq_u32 s[sgprBeta], 0x0                     // Beta == 0
s_cbranch_scc0 GW_Beta_59                          // Branch if Beta is not zero

s_and_b32 s52, 255, s[sgprSizeI]                   // s52 = s[sgprSizeI] % 256
s_add_u32 s53, -0x1, s[sgprNumWorkGroups0]         // 
s_cmp_ge_u32 s[sgprWorkGroup0], s53                // wg0 >= nwg0-1 ?
s_cselect_b32 s52, s52, 0                          // set rMT0
s_cmpk_gt_u32 s52, 0x0                             // rMT0 > 0
s_cbranch_scc1 GW_B0_E1_50                         // jump if edges required
s_and_b32 s52, 255, s[sgprSizeJ]                   // s52 = s[sgprSizeJ] % 256
s_add_u32 s53, -0x1, s[sgprNumWorkGroups1]         // 
s_cmp_ge_u32 s[sgprWorkGroup1], s53                // wg1 >= nwg1-1
s_cselect_b32 s52, s52, 0                          // set rMT1
s_cmpk_gt_u32 s52, 0x0                             // rMT1 > 0
s_cbranch_scc1 GW_B0_E1_50                         // jump if edges required
GW_B0_E0_47:

/* edge=0, allocate 2 sgpr. perBatchTmpS=2 perBatchMaskS=0 perElementMaskS=0 elementsPerBatch=60 */
/* optSingleColVgpr=1 optSharedColVgpr=0 optSGPRUsage=BufferLoad_Mask optSrdIncForRow=1 */

/******************************************/
/* Global Write Alpha Batch #0 (d1,d0,vc1,vc0) = */
/*    (0,0,0,0:vw4); (0,0,1,0:vw4); (0,0,2,0:vw4); (0,0,3,0:vw4); (0,0,4,0:vw4); (0,0,5,0:vw4); (0,0,6,0:vw4); (0,0,7,0:vw4); (1,0,0,0:vw4); (1,0,1,0:vw4); (1,0,2,0:vw4); (1,0,3,0:vw4); (1,0,4,0:vw4); (1,0,5,0:vw4); (1,0,6,0:vw4); (1,0,7,0:vw4); (2,0,0,0:vw4); (2,0,1,0:vw4); (2,0,2,0:vw4); (2,0,3,0:vw4); (2,0,4,0:vw4); (2,0,5,0:vw4); (2,0,6,0:vw4); (2,0,7,0:vw4); (3,0,0,0:vw4); (3,0,1,0:vw4); (3,0,2,0:vw4); (3,0,3,0:vw4); (3,0,4,0:vw4); (3,0,5,0:vw4); (3,0,6,0:vw4); (3,0,7,0:vw4); (4,0,0,0:vw4); (4,0,1,0:vw4); (4,0,2,0:vw4); (4,0,3,0:vw4); (4,0,4,0:vw4); (4,0,5,0:vw4); (4,0,6,0:vw4); (4,0,7,0:vw4); (5,0,0,0:vw4); (5,0,1,0:vw4); (5,0,2,0:vw4); (5,0,3,0:vw4); (5,0,4,0:vw4); (5,0,5,0:vw4); (5,0,6,0:vw4); (5,0,7,0:vw4); (6,0,0,0:vw4); (6,0,1,0:vw4); (6,0,2,0:vw4); (6,0,3,0:vw4); (6,0,4,0:vw4); (6,0,5,0:vw4); (6,0,6,0:vw4); (6,0,7,0:vw4); (7,0,0,0:vw4); (7,0,1,0:vw4); (7,0,2,0:vw4); (7,0,3,0:vw4) */
/******************************************/

/* calc coords, apply mask, and issue loads (if necessary) */
/* (d1,vc1,d0,vc0)=(0,0,0,0) */
/* (d1,vc1,d0,vc0)=(0,1,0,0) */
	;; [unrolled: 1-line block ×60, first 2 shown]
_v_add_lshl_u32 v10, v3, v0, 0x1                   // optSingleColVgpr scaleToBpe: sharedAddrVgpr <- cinRowPtr + coord0, scaled by BPE. BSHERE:coord0=0, coord0Vgpr=0
v_accvgpr_read_b32 v[vgprValuC+12], acc0 // copy acc to vreg[0]
v_accvgpr_read_b32 v[vgprValuC+13], acc4 // copy acc to vreg[1]
v_accvgpr_read_b32 v[vgprValuC+14], acc8 // copy acc to vreg[2]
v_accvgpr_read_b32 v[vgprValuC+15], acc12 // copy acc to vreg[3]
v_accvgpr_read_b32 v[vgprValuC+16], acc16 // copy acc to vreg[4]
v_accvgpr_read_b32 v[vgprValuC+17], acc20 // copy acc to vreg[5]
v_accvgpr_read_b32 v[vgprValuC+18], acc24 // copy acc to vreg[6]
v_accvgpr_read_b32 v[vgprValuC+19], acc28 // copy acc to vreg[7]
v_accvgpr_read_b32 v[vgprValuC+20], acc1 // copy acc to vreg[8]
v_accvgpr_read_b32 v[vgprValuC+21], acc5 // copy acc to vreg[9]
v_accvgpr_read_b32 v[vgprValuC+22], acc9 // copy acc to vreg[10]
v_accvgpr_read_b32 v[vgprValuC+23], acc13 // copy acc to vreg[11]
v_accvgpr_read_b32 v[vgprValuC+24], acc17 // copy acc to vreg[12]
v_accvgpr_read_b32 v[vgprValuC+25], acc21 // copy acc to vreg[13]
v_accvgpr_read_b32 v[vgprValuC+26], acc25 // copy acc to vreg[14]
v_accvgpr_read_b32 v[vgprValuC+27], acc29 // copy acc to vreg[15]
v_accvgpr_read_b32 v[vgprValuC+28], acc2 // copy acc to vreg[16]
v_accvgpr_read_b32 v[vgprValuC+29], acc6 // copy acc to vreg[17]
v_accvgpr_read_b32 v[vgprValuC+30], acc10 // copy acc to vreg[18]
v_accvgpr_read_b32 v[vgprValuC+31], acc14 // copy acc to vreg[19]
v_accvgpr_read_b32 v[vgprValuC+32], acc18 // copy acc to vreg[20]
v_accvgpr_read_b32 v[vgprValuC+33], acc22 // copy acc to vreg[21]
v_accvgpr_read_b32 v[vgprValuC+34], acc26 // copy acc to vreg[22]
v_accvgpr_read_b32 v[vgprValuC+35], acc30 // copy acc to vreg[23]
v_accvgpr_read_b32 v[vgprValuC+36], acc3 // copy acc to vreg[24]
v_accvgpr_read_b32 v[vgprValuC+37], acc7 // copy acc to vreg[25]
v_accvgpr_read_b32 v[vgprValuC+38], acc11 // copy acc to vreg[26]
v_accvgpr_read_b32 v[vgprValuC+39], acc15 // copy acc to vreg[27]
v_accvgpr_read_b32 v[vgprValuC+40], acc19 // copy acc to vreg[28]
v_accvgpr_read_b32 v[vgprValuC+41], acc23 // copy acc to vreg[29]
v_accvgpr_read_b32 v[vgprValuC+42], acc27 // copy acc to vreg[30]
v_accvgpr_read_b32 v[vgprValuC+43], acc31 // copy acc to vreg[31]
v_accvgpr_read_b32 v[vgprValuC+44], acc32 // copy acc to vreg[32]
v_accvgpr_read_b32 v[vgprValuC+45], acc36 // copy acc to vreg[33]
v_accvgpr_read_b32 v[vgprValuC+46], acc40 // copy acc to vreg[34]
v_accvgpr_read_b32 v[vgprValuC+47], acc44 // copy acc to vreg[35]
v_accvgpr_read_b32 v[vgprValuC+48], acc48 // copy acc to vreg[36]
v_accvgpr_read_b32 v[vgprValuC+49], acc52 // copy acc to vreg[37]
v_accvgpr_read_b32 v[vgprValuC+50], acc56 // copy acc to vreg[38]
v_accvgpr_read_b32 v[vgprValuC+51], acc60 // copy acc to vreg[39]
v_accvgpr_read_b32 v[vgprValuC+52], acc33 // copy acc to vreg[40]
v_accvgpr_read_b32 v[vgprValuC+53], acc37 // copy acc to vreg[41]
v_accvgpr_read_b32 v[vgprValuC+54], acc41 // copy acc to vreg[42]
v_accvgpr_read_b32 v[vgprValuC+55], acc45 // copy acc to vreg[43]
v_accvgpr_read_b32 v[vgprValuC+56], acc49 // copy acc to vreg[44]
v_accvgpr_read_b32 v[vgprValuC+57], acc53 // copy acc to vreg[45]
v_accvgpr_read_b32 v[vgprValuC+58], acc57 // copy acc to vreg[46]
v_accvgpr_read_b32 v[vgprValuC+59], acc61 // copy acc to vreg[47]
v_accvgpr_read_b32 v[vgprValuC+60], acc34 // copy acc to vreg[48]
v_accvgpr_read_b32 v[vgprValuC+61], acc38 // copy acc to vreg[49]
v_accvgpr_read_b32 v[vgprValuC+62], acc42 // copy acc to vreg[50]
v_accvgpr_read_b32 v[vgprValuC+63], acc46 // copy acc to vreg[51]
v_accvgpr_read_b32 v[vgprValuC+64], acc50 // copy acc to vreg[52]
v_accvgpr_read_b32 v[vgprValuC+65], acc54 // copy acc to vreg[53]
v_accvgpr_read_b32 v[vgprValuC+66], acc58 // copy acc to vreg[54]
v_accvgpr_read_b32 v[vgprValuC+67], acc62 // copy acc to vreg[55]
v_accvgpr_read_b32 v[vgprValuC+68], acc35 // copy acc to vreg[56]
v_accvgpr_read_b32 v[vgprValuC+69], acc39 // copy acc to vreg[57]
v_accvgpr_read_b32 v[vgprValuC+70], acc43 // copy acc to vreg[58]
v_accvgpr_read_b32 v[vgprValuC+71], acc47 // copy acc to vreg[59]
v_accvgpr_read_b32 v[vgprValuC+72], acc51 // copy acc to vreg[60]
v_accvgpr_read_b32 v[vgprValuC+73], acc55 // copy acc to vreg[61]
v_accvgpr_read_b32 v[vgprValuC+74], acc59 // copy acc to vreg[62]
v_accvgpr_read_b32 v[vgprValuC+75], acc63 // copy acc to vreg[63]
v_accvgpr_read_b32 v[vgprValuC+76], acc64 // copy acc to vreg[64]
v_accvgpr_read_b32 v[vgprValuC+77], acc68 // copy acc to vreg[65]
v_accvgpr_read_b32 v[vgprValuC+78], acc72 // copy acc to vreg[66]
v_accvgpr_read_b32 v[vgprValuC+79], acc76 // copy acc to vreg[67]
v_accvgpr_read_b32 v[vgprValuC+80], acc80 // copy acc to vreg[68]
v_accvgpr_read_b32 v[vgprValuC+81], acc84 // copy acc to vreg[69]
v_accvgpr_read_b32 v[vgprValuC+82], acc88 // copy acc to vreg[70]
v_accvgpr_read_b32 v[vgprValuC+83], acc92 // copy acc to vreg[71]
v_accvgpr_read_b32 v[vgprValuC+84], acc65 // copy acc to vreg[72]
v_accvgpr_read_b32 v[vgprValuC+85], acc69 // copy acc to vreg[73]
v_accvgpr_read_b32 v[vgprValuC+86], acc73 // copy acc to vreg[74]
v_accvgpr_read_b32 v[vgprValuC+87], acc77 // copy acc to vreg[75]
v_accvgpr_read_b32 v[vgprValuC+88], acc81 // copy acc to vreg[76]
v_accvgpr_read_b32 v[vgprValuC+89], acc85 // copy acc to vreg[77]
v_accvgpr_read_b32 v[vgprValuC+90], acc89 // copy acc to vreg[78]
v_accvgpr_read_b32 v[vgprValuC+91], acc93 // copy acc to vreg[79]
v_accvgpr_read_b32 v[vgprValuC+92], acc66 // copy acc to vreg[80]
v_accvgpr_read_b32 v[vgprValuC+93], acc70 // copy acc to vreg[81]
v_accvgpr_read_b32 v[vgprValuC+94], acc74 // copy acc to vreg[82]
v_accvgpr_read_b32 v[vgprValuC+95], acc78 // copy acc to vreg[83]
v_accvgpr_read_b32 v[vgprValuC+96], acc82 // copy acc to vreg[84]
v_accvgpr_read_b32 v[vgprValuC+97], acc86 // copy acc to vreg[85]
v_accvgpr_read_b32 v[vgprValuC+98], acc90 // copy acc to vreg[86]
v_accvgpr_read_b32 v[vgprValuC+99], acc94 // copy acc to vreg[87]
v_accvgpr_read_b32 v[vgprValuC+100], acc67 // copy acc to vreg[88]
v_accvgpr_read_b32 v[vgprValuC+101], acc71 // copy acc to vreg[89]
v_accvgpr_read_b32 v[vgprValuC+102], acc75 // copy acc to vreg[90]
v_accvgpr_read_b32 v[vgprValuC+103], acc79 // copy acc to vreg[91]
v_accvgpr_read_b32 v[vgprValuC+104], acc83 // copy acc to vreg[92]
v_accvgpr_read_b32 v[vgprValuC+105], acc87 // copy acc to vreg[93]
v_accvgpr_read_b32 v[vgprValuC+106], acc91 // copy acc to vreg[94]
v_accvgpr_read_b32 v[vgprValuC+107], acc95 // copy acc to vreg[95]
v_accvgpr_read_b32 v[vgprValuC+108], acc96 // copy acc to vreg[96]
v_accvgpr_read_b32 v[vgprValuC+109], acc100 // copy acc to vreg[97]
v_accvgpr_read_b32 v[vgprValuC+110], acc104 // copy acc to vreg[98]
v_accvgpr_read_b32 v[vgprValuC+111], acc108 // copy acc to vreg[99]
v_accvgpr_read_b32 v[vgprValuC+112], acc112 // copy acc to vreg[100]
v_accvgpr_read_b32 v[vgprValuC+113], acc116 // copy acc to vreg[101]
v_accvgpr_read_b32 v[vgprValuC+114], acc120 // copy acc to vreg[102]
v_accvgpr_read_b32 v[vgprValuC+115], acc124 // copy acc to vreg[103]
v_accvgpr_read_b32 v[vgprValuC+116], acc97 // copy acc to vreg[104]
v_accvgpr_read_b32 v[vgprValuC+117], acc101 // copy acc to vreg[105]
v_accvgpr_read_b32 v[vgprValuC+118], acc105 // copy acc to vreg[106]
v_accvgpr_read_b32 v[vgprValuC+119], acc109 // copy acc to vreg[107]
v_accvgpr_read_b32 v[vgprValuC+120], acc113 // copy acc to vreg[108]
v_accvgpr_read_b32 v[vgprValuC+121], acc117 // copy acc to vreg[109]
v_accvgpr_read_b32 v[vgprValuC+122], acc121 // copy acc to vreg[110]
v_accvgpr_read_b32 v[vgprValuC+123], acc125 // copy acc to vreg[111]
v_accvgpr_read_b32 v[vgprValuC+124], acc98 // copy acc to vreg[112]
v_accvgpr_read_b32 v[vgprValuC+125], acc102 // copy acc to vreg[113]
v_accvgpr_read_b32 v[vgprValuC+126], acc106 // copy acc to vreg[114]
v_accvgpr_read_b32 v[vgprValuC+127], acc110 // copy acc to vreg[115]
v_accvgpr_read_b32 v[vgprValuC+128], acc114 // copy acc to vreg[116]
v_accvgpr_read_b32 v[vgprValuC+129], acc118 // copy acc to vreg[117]
v_accvgpr_read_b32 v[vgprValuC+130], acc122 // copy acc to vreg[118]
v_accvgpr_read_b32 v[vgprValuC+131], acc126 // copy acc to vreg[119]
v_accvgpr_read_b32 v[vgprValuC+132], acc99 // copy acc to vreg[120]
v_accvgpr_read_b32 v[vgprValuC+133], acc103 // copy acc to vreg[121]
v_accvgpr_read_b32 v[vgprValuC+134], acc107 // copy acc to vreg[122]
v_accvgpr_read_b32 v[vgprValuC+135], acc111 // copy acc to vreg[123]
v_accvgpr_read_b32 v[vgprValuC+136], acc115 // copy acc to vreg[124]
v_accvgpr_read_b32 v[vgprValuC+137], acc119 // copy acc to vreg[125]
v_accvgpr_read_b32 v[vgprValuC+138], acc123 // copy acc to vreg[126]
v_accvgpr_read_b32 v[vgprValuC+139], acc127 // copy acc to vreg[127]
v_accvgpr_read_b32 v[vgprValuC+140], acc128 // copy acc to vreg[128]
v_accvgpr_read_b32 v[vgprValuC+141], acc132 // copy acc to vreg[129]
v_accvgpr_read_b32 v[vgprValuC+142], acc136 // copy acc to vreg[130]
v_accvgpr_read_b32 v[vgprValuC+143], acc140 // copy acc to vreg[131]
v_accvgpr_read_b32 v[vgprValuC+144], acc144 // copy acc to vreg[132]
v_accvgpr_read_b32 v[vgprValuC+145], acc148 // copy acc to vreg[133]
v_accvgpr_read_b32 v[vgprValuC+146], acc152 // copy acc to vreg[134]
v_accvgpr_read_b32 v[vgprValuC+147], acc156 // copy acc to vreg[135]
v_accvgpr_read_b32 v[vgprValuC+148], acc129 // copy acc to vreg[136]
v_accvgpr_read_b32 v[vgprValuC+149], acc133 // copy acc to vreg[137]
v_accvgpr_read_b32 v[vgprValuC+150], acc137 // copy acc to vreg[138]
v_accvgpr_read_b32 v[vgprValuC+151], acc141 // copy acc to vreg[139]
v_accvgpr_read_b32 v[vgprValuC+152], acc145 // copy acc to vreg[140]
v_accvgpr_read_b32 v[vgprValuC+153], acc149 // copy acc to vreg[141]
v_accvgpr_read_b32 v[vgprValuC+154], acc153 // copy acc to vreg[142]
v_accvgpr_read_b32 v[vgprValuC+155], acc157 // copy acc to vreg[143]
v_accvgpr_read_b32 v[vgprValuC+156], acc130 // copy acc to vreg[144]
v_accvgpr_read_b32 v[vgprValuC+157], acc134 // copy acc to vreg[145]
v_accvgpr_read_b32 v[vgprValuC+158], acc138 // copy acc to vreg[146]
v_accvgpr_read_b32 v[vgprValuC+159], acc142 // copy acc to vreg[147]
v_accvgpr_read_b32 v[vgprValuC+160], acc146 // copy acc to vreg[148]
v_accvgpr_read_b32 v[vgprValuC+161], acc150 // copy acc to vreg[149]
v_accvgpr_read_b32 v[vgprValuC+162], acc154 // copy acc to vreg[150]
v_accvgpr_read_b32 v[vgprValuC+163], acc158 // copy acc to vreg[151]
v_accvgpr_read_b32 v[vgprValuC+164], acc131 // copy acc to vreg[152]
v_accvgpr_read_b32 v[vgprValuC+165], acc135 // copy acc to vreg[153]
v_accvgpr_read_b32 v[vgprValuC+166], acc139 // copy acc to vreg[154]
v_accvgpr_read_b32 v[vgprValuC+167], acc143 // copy acc to vreg[155]
v_accvgpr_read_b32 v[vgprValuC+168], acc147 // copy acc to vreg[156]
v_accvgpr_read_b32 v[vgprValuC+169], acc151 // copy acc to vreg[157]
v_accvgpr_read_b32 v[vgprValuC+170], acc155 // copy acc to vreg[158]
v_accvgpr_read_b32 v[vgprValuC+171], acc159 // copy acc to vreg[159]
v_accvgpr_read_b32 v[vgprValuC+172], acc160 // copy acc to vreg[160]
v_accvgpr_read_b32 v[vgprValuC+173], acc164 // copy acc to vreg[161]
v_accvgpr_read_b32 v[vgprValuC+174], acc168 // copy acc to vreg[162]
v_accvgpr_read_b32 v[vgprValuC+175], acc172 // copy acc to vreg[163]
v_accvgpr_read_b32 v[vgprValuC+176], acc176 // copy acc to vreg[164]
v_accvgpr_read_b32 v[vgprValuC+177], acc180 // copy acc to vreg[165]
v_accvgpr_read_b32 v[vgprValuC+178], acc184 // copy acc to vreg[166]
v_accvgpr_read_b32 v[vgprValuC+179], acc188 // copy acc to vreg[167]
v_accvgpr_read_b32 v[vgprValuC+180], acc161 // copy acc to vreg[168]
v_accvgpr_read_b32 v[vgprValuC+181], acc165 // copy acc to vreg[169]
v_accvgpr_read_b32 v[vgprValuC+182], acc169 // copy acc to vreg[170]
v_accvgpr_read_b32 v[vgprValuC+183], acc173 // copy acc to vreg[171]
v_accvgpr_read_b32 v[vgprValuC+184], acc177 // copy acc to vreg[172]
v_accvgpr_read_b32 v[vgprValuC+185], acc181 // copy acc to vreg[173]
v_accvgpr_read_b32 v[vgprValuC+186], acc185 // copy acc to vreg[174]
v_accvgpr_read_b32 v[vgprValuC+187], acc189 // copy acc to vreg[175]
v_accvgpr_read_b32 v[vgprValuC+188], acc162 // copy acc to vreg[176]
v_accvgpr_read_b32 v[vgprValuC+189], acc166 // copy acc to vreg[177]
v_accvgpr_read_b32 v[vgprValuC+190], acc170 // copy acc to vreg[178]
v_accvgpr_read_b32 v[vgprValuC+191], acc174 // copy acc to vreg[179]
v_accvgpr_read_b32 v[vgprValuC+192], acc178 // copy acc to vreg[180]
v_accvgpr_read_b32 v[vgprValuC+193], acc182 // copy acc to vreg[181]
v_accvgpr_read_b32 v[vgprValuC+194], acc186 // copy acc to vreg[182]
v_accvgpr_read_b32 v[vgprValuC+195], acc190 // copy acc to vreg[183]
v_accvgpr_read_b32 v[vgprValuC+196], acc163 // copy acc to vreg[184]
v_accvgpr_read_b32 v[vgprValuC+197], acc167 // copy acc to vreg[185]
v_accvgpr_read_b32 v[vgprValuC+198], acc171 // copy acc to vreg[186]
v_accvgpr_read_b32 v[vgprValuC+199], acc175 // copy acc to vreg[187]
v_accvgpr_read_b32 v[vgprValuC+200], acc179 // copy acc to vreg[188]
v_accvgpr_read_b32 v[vgprValuC+201], acc183 // copy acc to vreg[189]
v_accvgpr_read_b32 v[vgprValuC+202], acc187 // copy acc to vreg[190]
v_accvgpr_read_b32 v[vgprValuC+203], acc191 // copy acc to vreg[191]
v_accvgpr_read_b32 v[vgprValuC+204], acc192 // copy acc to vreg[192]
v_accvgpr_read_b32 v[vgprValuC+205], acc196 // copy acc to vreg[193]
v_accvgpr_read_b32 v[vgprValuC+206], acc200 // copy acc to vreg[194]
v_accvgpr_read_b32 v[vgprValuC+207], acc204 // copy acc to vreg[195]
v_accvgpr_read_b32 v[vgprValuC+208], acc208 // copy acc to vreg[196]
v_accvgpr_read_b32 v[vgprValuC+209], acc212 // copy acc to vreg[197]
v_accvgpr_read_b32 v[vgprValuC+210], acc216 // copy acc to vreg[198]
v_accvgpr_read_b32 v[vgprValuC+211], acc220 // copy acc to vreg[199]
v_accvgpr_read_b32 v[vgprValuC+212], acc193 // copy acc to vreg[200]
v_accvgpr_read_b32 v[vgprValuC+213], acc197 // copy acc to vreg[201]
v_accvgpr_read_b32 v[vgprValuC+214], acc201 // copy acc to vreg[202]
v_accvgpr_read_b32 v[vgprValuC+215], acc205 // copy acc to vreg[203]
v_accvgpr_read_b32 v[vgprValuC+220], acc209 // copy acc to vreg[204]
v_accvgpr_read_b32 v[vgprValuC+221], acc213 // copy acc to vreg[205]
v_accvgpr_read_b32 v[vgprValuC+222], acc217 // copy acc to vreg[206]
v_accvgpr_read_b32 v[vgprValuC+223], acc221 // copy acc to vreg[207]
v_accvgpr_read_b32 v[vgprValuC+224], acc194 // copy acc to vreg[208]
v_accvgpr_read_b32 v[vgprValuC+225], acc198 // copy acc to vreg[209]
v_accvgpr_read_b32 v[vgprValuC+226], acc202 // copy acc to vreg[210]
v_accvgpr_read_b32 v[vgprValuC+227], acc206 // copy acc to vreg[211]
v_accvgpr_read_b32 v[vgprValuC+228], acc210 // copy acc to vreg[212]
v_accvgpr_read_b32 v[vgprValuC+229], acc214 // copy acc to vreg[213]
v_accvgpr_read_b32 v[vgprValuC+230], acc218 // copy acc to vreg[214]
v_accvgpr_read_b32 v[vgprValuC+231], acc222 // copy acc to vreg[215]
v_accvgpr_read_b32 v[vgprValuC+232], acc195 // copy acc to vreg[216]
v_accvgpr_read_b32 v[vgprValuC+233], acc199 // copy acc to vreg[217]
v_accvgpr_read_b32 v[vgprValuC+234], acc203 // copy acc to vreg[218]
v_accvgpr_read_b32 v[vgprValuC+235], acc207 // copy acc to vreg[219]
v_accvgpr_read_b32 v[vgprValuC+236], acc211 // copy acc to vreg[220]
v_accvgpr_read_b32 v[vgprValuC+237], acc215 // copy acc to vreg[221]
v_accvgpr_read_b32 v[vgprValuC+238], acc219 // copy acc to vreg[222]
v_accvgpr_read_b32 v[vgprValuC+239], acc223 // copy acc to vreg[223]
v_accvgpr_read_b32 v[vgprValuC+240], acc224 // copy acc to vreg[224]
v_accvgpr_read_b32 v[vgprValuC+241], acc228 // copy acc to vreg[225]
v_accvgpr_read_b32 v[vgprValuC+242], acc232 // copy acc to vreg[226]
v_accvgpr_read_b32 v[vgprValuC+243], acc236 // copy acc to vreg[227]
v_accvgpr_read_b32 v[vgprValuC+244], acc240 // copy acc to vreg[228]
v_accvgpr_read_b32 v[vgprValuC+245], acc244 // copy acc to vreg[229]
v_accvgpr_read_b32 v[vgprValuC+246], acc248 // copy acc to vreg[230]
v_accvgpr_read_b32 v[vgprValuC+247], acc252 // copy acc to vreg[231]
v_accvgpr_read_b32 v[vgprValuC+248], acc225 // copy acc to vreg[232]
v_accvgpr_read_b32 v[vgprValuC+249], acc229 // copy acc to vreg[233]
v_accvgpr_read_b32 v[vgprValuC+250], acc233 // copy acc to vreg[234]
v_accvgpr_read_b32 v[vgprValuC+251], acc237 // copy acc to vreg[235]
v_accvgpr_read_b32 v[vgprValuC+252], acc241 // copy acc to vreg[236]
v_accvgpr_read_b32 v[vgprValuC+253], acc245 // copy acc to vreg[237]
v_accvgpr_read_b32 v[vgprValuC+254], acc249 // copy acc to vreg[238]
v_accvgpr_read_b32 v[vgprValuC+255], acc253 // copy acc to vreg[239]
s_nop 1                                            // 2 wait states required before reading vgpr

/* rC *= alpha batchElements=[(0, 0, 0, 0), (0, 0, 1, 0), (0, 0, 2, 0), (0, 0, 3, 0), (0, 0, 4, 0), (0, 0, 5, 0), (0, 0, 6, 0), (0, 0, 7, 0), (1, 0, 0, 0), (1, 0, 1, 0), (1, 0, 2, 0), (1, 0, 3, 0), (1, 0, 4, 0), (1, 0, 5, 0), (1, 0, 6, 0), (1, 0, 7, 0), (2, 0, 0, 0), (2, 0, 1, 0), (2, 0, 2, 0), (2, 0, 3, 0), (2, 0, 4, 0), (2, 0, 5, 0), (2, 0, 6, 0), (2, 0, 7, 0), (3, 0, 0, 0), (3, 0, 1, 0), (3, 0, 2, 0), (3, 0, 3, 0), (3, 0, 4, 0), (3, 0, 5, 0), (3, 0, 6, 0), (3, 0, 7, 0), (4, 0, 0, 0), (4, 0, 1, 0), (4, 0, 2, 0), (4, 0, 3, 0), (4, 0, 4, 0), (4, 0, 5, 0), (4, 0, 6, 0), (4, 0, 7, 0), (5, 0, 0, 0), (5, 0, 1, 0), (5, 0, 2, 0), (5, 0, 3, 0), (5, 0, 4, 0), (5, 0, 5, 0), (5, 0, 6, 0), (5, 0, 7, 0), (6, 0, 0, 0), (6, 0, 1, 0), (6, 0, 2, 0), (6, 0, 3, 0), (6, 0, 4, 0), (6, 0, 5, 0), (6, 0, 6, 0), (6, 0, 7, 0), (7, 0, 0, 0), (7, 0, 1, 0), (7, 0, 2, 0), (7, 0, 3, 0)] */
v_mul_f32 v[vgprValuC+12], s[sgprAlpha], v[vgprValuC+12] // *= alpha
v_mul_f32 v[vgprValuC+13], s[sgprAlpha], v[vgprValuC+13] // *= alpha
	;; [unrolled: 1-line block ×240, first 2 shown]

/* apply mask, calc new C and issue writes */
v_mov_b32 v7, 0xffff0000                           // mask for pack two bfloat16 element to 32bit
v_mov_b32 v8, 0x7fff0000                           // fp32 Nan
v_mov_b32 v9, 0x7fff                               // rounding bias for bfloat16
v_cmp_u_f32 s[34:35], v[vgprValuC+12], v[vgprValuC+12] // check Nan
v_bfe_u32 v6, v[vgprValuC+12], 16, 1               // Non-Nan case: store lsb of bf16
v_add3_u32 v6, v[vgprValuC+12], v6, v9             // Non-Nan case: add lsb and the increment for rounding
v_cndmask_b32 v[vgprValuC+12], v6, v8, s[34:35]    // 
v_lshrrev_b32 v[vgprValuC+12], 16, v[vgprValuC+12] // convert C to bf16
v_cmp_u_f32 s[34:35], v[vgprValuC+13], v[vgprValuC+13] // check Nan
v_bfe_u32 v6, v[vgprValuC+13], 16, 1               // Non-Nan case: store lsb of bf16
v_add3_u32 v6, v[vgprValuC+13], v6, v9             // Non-Nan case: add lsb and the increment for rounding
v_cndmask_b32 v[vgprValuC+13], v6, v8, s[34:35]    // 
v_and_or_b32 v12, v[vgprValuC+13], v7, v[vgprValuC+12] // pack two bf16 to dword
v_cmp_u_f32 s[34:35], v[vgprValuC+14], v[vgprValuC+14] // check Nan
v_bfe_u32 v6, v[vgprValuC+14], 16, 1               // Non-Nan case: store lsb of bf16
v_add3_u32 v6, v[vgprValuC+14], v6, v9             // Non-Nan case: add lsb and the increment for rounding
v_cndmask_b32 v[vgprValuC+14], v6, v8, s[34:35]    // 
v_lshrrev_b32 v[vgprValuC+14], 16, v[vgprValuC+14] // convert C to bf16
v_cmp_u_f32 s[34:35], v[vgprValuC+15], v[vgprValuC+15] // check Nan
v_bfe_u32 v6, v[vgprValuC+15], 16, 1               // Non-Nan case: store lsb of bf16
v_add3_u32 v6, v[vgprValuC+15], v6, v9             // Non-Nan case: add lsb and the increment for rounding
v_cndmask_b32 v[vgprValuC+15], v6, v8, s[34:35]    // 
v_and_or_b32 v13, v[vgprValuC+15], v7, v[vgprValuC+14] // pack two bf16 to dword
_buffer_store_b64 v[12:13], v10, s[sgprSrdD:sgprSrdD+3], 0, offen, offset:0,  sc0 sc1 // store D
v_cmp_u_f32 s[34:35], v[vgprValuC+16], v[vgprValuC+16] // check Nan
v_bfe_u32 v6, v[vgprValuC+16], 16, 1               // Non-Nan case: store lsb of bf16
v_add3_u32 v6, v[vgprValuC+16], v6, v9             // Non-Nan case: add lsb and the increment for rounding
v_cndmask_b32 v[vgprValuC+16], v6, v8, s[34:35]    // 
v_lshrrev_b32 v[vgprValuC+16], 16, v[vgprValuC+16] // convert C to bf16
v_cmp_u_f32 s[34:35], v[vgprValuC+17], v[vgprValuC+17] // check Nan
v_bfe_u32 v6, v[vgprValuC+17], 16, 1               // Non-Nan case: store lsb of bf16
v_add3_u32 v6, v[vgprValuC+17], v6, v9             // Non-Nan case: add lsb and the increment for rounding
v_cndmask_b32 v[vgprValuC+17], v6, v8, s[34:35]    // 
v_and_or_b32 v16, v[vgprValuC+17], v7, v[vgprValuC+16] // pack two bf16 to dword
v_cmp_u_f32 s[34:35], v[vgprValuC+18], v[vgprValuC+18] // check Nan
v_bfe_u32 v6, v[vgprValuC+18], 16, 1               // Non-Nan case: store lsb of bf16
v_add3_u32 v6, v[vgprValuC+18], v6, v9             // Non-Nan case: add lsb and the increment for rounding
v_cndmask_b32 v[vgprValuC+18], v6, v8, s[34:35]    // 
v_lshrrev_b32 v[vgprValuC+18], 16, v[vgprValuC+18] // convert C to bf16
v_cmp_u_f32 s[34:35], v[vgprValuC+19], v[vgprValuC+19] // check Nan
v_bfe_u32 v6, v[vgprValuC+19], 16, 1               // Non-Nan case: store lsb of bf16
v_add3_u32 v6, v[vgprValuC+19], v6, v9             // Non-Nan case: add lsb and the increment for rounding
v_cndmask_b32 v[vgprValuC+19], v6, v8, s[34:35]    // 
v_and_or_b32 v17, v[vgprValuC+19], v7, v[vgprValuC+18] // pack two bf16 to dword
s_lshl_b32  s34, s[sgprStrideD1J], 1               // incToNextRow: Scale by BPE
s_add_u32  s[sgprSrdD+0], s[sgprSrdD+0], s34       // incToNextRow: gra SRD += inc(lower)
s_addc_u32  s[sgprSrdD+1], s[sgprSrdD+1], 0        // incToNextRow: gra SRD += inc(upper)
_buffer_store_b64 v[16:17], v10, s[sgprSrdD:sgprSrdD+3], 0, offen, offset:0,  sc0 sc1 // store D
v_cmp_u_f32 s[34:35], v[vgprValuC+20], v[vgprValuC+20] // check Nan
v_bfe_u32 v6, v[vgprValuC+20], 16, 1               // Non-Nan case: store lsb of bf16
v_add3_u32 v6, v[vgprValuC+20], v6, v9             // Non-Nan case: add lsb and the increment for rounding
v_cndmask_b32 v[vgprValuC+20], v6, v8, s[34:35]    // 
v_lshrrev_b32 v[vgprValuC+20], 16, v[vgprValuC+20] // convert C to bf16
v_cmp_u_f32 s[34:35], v[vgprValuC+21], v[vgprValuC+21] // check Nan
v_bfe_u32 v6, v[vgprValuC+21], 16, 1               // Non-Nan case: store lsb of bf16
v_add3_u32 v6, v[vgprValuC+21], v6, v9             // Non-Nan case: add lsb and the increment for rounding
v_cndmask_b32 v[vgprValuC+21], v6, v8, s[34:35]    // 
v_and_or_b32 v20, v[vgprValuC+21], v7, v[vgprValuC+20] // pack two bf16 to dword
v_cmp_u_f32 s[34:35], v[vgprValuC+22], v[vgprValuC+22] // check Nan
v_bfe_u32 v6, v[vgprValuC+22], 16, 1               // Non-Nan case: store lsb of bf16
v_add3_u32 v6, v[vgprValuC+22], v6, v9             // Non-Nan case: add lsb and the increment for rounding
v_cndmask_b32 v[vgprValuC+22], v6, v8, s[34:35]    // 
v_lshrrev_b32 v[vgprValuC+22], 16, v[vgprValuC+22] // convert C to bf16
v_cmp_u_f32 s[34:35], v[vgprValuC+23], v[vgprValuC+23] // check Nan
v_bfe_u32 v6, v[vgprValuC+23], 16, 1               // Non-Nan case: store lsb of bf16
v_add3_u32 v6, v[vgprValuC+23], v6, v9             // Non-Nan case: add lsb and the increment for rounding
v_cndmask_b32 v[vgprValuC+23], v6, v8, s[34:35]    // 
v_and_or_b32 v21, v[vgprValuC+23], v7, v[vgprValuC+22] // pack two bf16 to dword
s_lshl_b32  s34, s[sgprStrideD1J], 1               // incToNextRow: Scale by BPE
s_add_u32  s[sgprSrdD+0], s[sgprSrdD+0], s34       // incToNextRow: gra SRD += inc(lower)
s_addc_u32  s[sgprSrdD+1], s[sgprSrdD+1], 0        // incToNextRow: gra SRD += inc(upper)
	;; [unrolled: 24-line block ×7, first 2 shown]
_buffer_store_b64 v[40:41], v10, s[sgprSrdD:sgprSrdD+3], 0, offen, offset:0,  sc0 sc1 // store D
v_cmp_u_f32 s[34:35], v[vgprValuC+44], v[vgprValuC+44] // check Nan
v_bfe_u32 v6, v[vgprValuC+44], 16, 1               // Non-Nan case: store lsb of bf16
v_add3_u32 v6, v[vgprValuC+44], v6, v9             // Non-Nan case: add lsb and the increment for rounding
v_cndmask_b32 v[vgprValuC+44], v6, v8, s[34:35]    // 
v_lshrrev_b32 v[vgprValuC+44], 16, v[vgprValuC+44] // convert C to bf16
v_cmp_u_f32 s[34:35], v[vgprValuC+45], v[vgprValuC+45] // check Nan
v_bfe_u32 v6, v[vgprValuC+45], 16, 1               // Non-Nan case: store lsb of bf16
v_add3_u32 v6, v[vgprValuC+45], v6, v9             // Non-Nan case: add lsb and the increment for rounding
v_cndmask_b32 v[vgprValuC+45], v6, v8, s[34:35]    // 
v_and_or_b32 v44, v[vgprValuC+45], v7, v[vgprValuC+44] // pack two bf16 to dword
v_cmp_u_f32 s[34:35], v[vgprValuC+46], v[vgprValuC+46] // check Nan
v_bfe_u32 v6, v[vgprValuC+46], 16, 1               // Non-Nan case: store lsb of bf16
v_add3_u32 v6, v[vgprValuC+46], v6, v9             // Non-Nan case: add lsb and the increment for rounding
v_cndmask_b32 v[vgprValuC+46], v6, v8, s[34:35]    // 
v_lshrrev_b32 v[vgprValuC+46], 16, v[vgprValuC+46] // convert C to bf16
v_cmp_u_f32 s[34:35], v[vgprValuC+47], v[vgprValuC+47] // check Nan
v_bfe_u32 v6, v[vgprValuC+47], 16, 1               // Non-Nan case: store lsb of bf16
v_add3_u32 v6, v[vgprValuC+47], v6, v9             // Non-Nan case: add lsb and the increment for rounding
v_cndmask_b32 v[vgprValuC+47], v6, v8, s[34:35]    // 
v_and_or_b32 v45, v[vgprValuC+47], v7, v[vgprValuC+46] // pack two bf16 to dword
s_mul_i32 s34, s[sgprStrideD1J], 50                // scale StrideD *= numRows(25) * bpe
s_add_u32  s[sgprSrdD+0], s[sgprSrdD+0], s34       // incToNextRow: gra SRD += inc(lower)
s_addc_u32  s[sgprSrdD+1], s[sgprSrdD+1], 0        // incToNextRow: gra SRD += inc(upper)
_buffer_store_b64 v[44:45], v10, s[sgprSrdD:sgprSrdD+3], 0, offen, offset:0,  sc0 sc1 // store D
v_cmp_u_f32 s[34:35], v[vgprValuC+48], v[vgprValuC+48] // check Nan
v_bfe_u32 v6, v[vgprValuC+48], 16, 1               // Non-Nan case: store lsb of bf16
v_add3_u32 v6, v[vgprValuC+48], v6, v9             // Non-Nan case: add lsb and the increment for rounding
v_cndmask_b32 v[vgprValuC+48], v6, v8, s[34:35]    // 
v_lshrrev_b32 v[vgprValuC+48], 16, v[vgprValuC+48] // convert C to bf16
v_cmp_u_f32 s[34:35], v[vgprValuC+49], v[vgprValuC+49] // check Nan
v_bfe_u32 v6, v[vgprValuC+49], 16, 1               // Non-Nan case: store lsb of bf16
v_add3_u32 v6, v[vgprValuC+49], v6, v9             // Non-Nan case: add lsb and the increment for rounding
v_cndmask_b32 v[vgprValuC+49], v6, v8, s[34:35]    // 
v_and_or_b32 v48, v[vgprValuC+49], v7, v[vgprValuC+48] // pack two bf16 to dword
v_cmp_u_f32 s[34:35], v[vgprValuC+50], v[vgprValuC+50] // check Nan
v_bfe_u32 v6, v[vgprValuC+50], 16, 1               // Non-Nan case: store lsb of bf16
v_add3_u32 v6, v[vgprValuC+50], v6, v9             // Non-Nan case: add lsb and the increment for rounding
v_cndmask_b32 v[vgprValuC+50], v6, v8, s[34:35]    // 
v_lshrrev_b32 v[vgprValuC+50], 16, v[vgprValuC+50] // convert C to bf16
v_cmp_u_f32 s[34:35], v[vgprValuC+51], v[vgprValuC+51] // check Nan
v_bfe_u32 v6, v[vgprValuC+51], 16, 1               // Non-Nan case: store lsb of bf16
v_add3_u32 v6, v[vgprValuC+51], v6, v9             // Non-Nan case: add lsb and the increment for rounding
v_cndmask_b32 v[vgprValuC+51], v6, v8, s[34:35]    // 
v_and_or_b32 v49, v[vgprValuC+51], v7, v[vgprValuC+50] // pack two bf16 to dword
s_lshl_b32  s34, s[sgprStrideD1J], 1               // incToNextRow: Scale by BPE
s_add_u32  s[sgprSrdD+0], s[sgprSrdD+0], s34       // incToNextRow: gra SRD += inc(lower)
s_addc_u32  s[sgprSrdD+1], s[sgprSrdD+1], 0        // incToNextRow: gra SRD += inc(upper)
_buffer_store_b64 v[48:49], v10, s[sgprSrdD:sgprSrdD+3], 0, offen, offset:0,  sc0 sc1 // store D
v_cmp_u_f32 s[34:35], v[vgprValuC+52], v[vgprValuC+52] // check Nan
v_bfe_u32 v6, v[vgprValuC+52], 16, 1               // Non-Nan case: store lsb of bf16
v_add3_u32 v6, v[vgprValuC+52], v6, v9             // Non-Nan case: add lsb and the increment for rounding
v_cndmask_b32 v[vgprValuC+52], v6, v8, s[34:35]    // 
v_lshrrev_b32 v[vgprValuC+52], 16, v[vgprValuC+52] // convert C to bf16
v_cmp_u_f32 s[34:35], v[vgprValuC+53], v[vgprValuC+53] // check Nan
v_bfe_u32 v6, v[vgprValuC+53], 16, 1               // Non-Nan case: store lsb of bf16
v_add3_u32 v6, v[vgprValuC+53], v6, v9             // Non-Nan case: add lsb and the increment for rounding
v_cndmask_b32 v[vgprValuC+53], v6, v8, s[34:35]    // 
v_and_or_b32 v52, v[vgprValuC+53], v7, v[vgprValuC+52] // pack two bf16 to dword
v_cmp_u_f32 s[34:35], v[vgprValuC+54], v[vgprValuC+54] // check Nan
v_bfe_u32 v6, v[vgprValuC+54], 16, 1               // Non-Nan case: store lsb of bf16
v_add3_u32 v6, v[vgprValuC+54], v6, v9             // Non-Nan case: add lsb and the increment for rounding
v_cndmask_b32 v[vgprValuC+54], v6, v8, s[34:35]    // 
v_lshrrev_b32 v[vgprValuC+54], 16, v[vgprValuC+54] // convert C to bf16
v_cmp_u_f32 s[34:35], v[vgprValuC+55], v[vgprValuC+55] // check Nan
v_bfe_u32 v6, v[vgprValuC+55], 16, 1               // Non-Nan case: store lsb of bf16
v_add3_u32 v6, v[vgprValuC+55], v6, v9             // Non-Nan case: add lsb and the increment for rounding
v_cndmask_b32 v[vgprValuC+55], v6, v8, s[34:35]    // 
v_and_or_b32 v53, v[vgprValuC+55], v7, v[vgprValuC+54] // pack two bf16 to dword
s_lshl_b32  s34, s[sgprStrideD1J], 1               // incToNextRow: Scale by BPE
	;; [unrolled: 24-line block ×7, first 2 shown]
s_add_u32  s[sgprSrdD+0], s[sgprSrdD+0], s34       // incToNextRow: gra SRD += inc(lower)
s_addc_u32  s[sgprSrdD+1], s[sgprSrdD+1], 0        // incToNextRow: gra SRD += inc(upper)
_buffer_store_b64 v[72:73], v10, s[sgprSrdD:sgprSrdD+3], 0, offen, offset:0,  sc0 sc1 // store D
v_cmp_u_f32 s[34:35], v[vgprValuC+76], v[vgprValuC+76] // check Nan
v_bfe_u32 v6, v[vgprValuC+76], 16, 1               // Non-Nan case: store lsb of bf16
v_add3_u32 v6, v[vgprValuC+76], v6, v9             // Non-Nan case: add lsb and the increment for rounding
v_cndmask_b32 v[vgprValuC+76], v6, v8, s[34:35]    // 
v_lshrrev_b32 v[vgprValuC+76], 16, v[vgprValuC+76] // convert C to bf16
v_cmp_u_f32 s[34:35], v[vgprValuC+77], v[vgprValuC+77] // check Nan
v_bfe_u32 v6, v[vgprValuC+77], 16, 1               // Non-Nan case: store lsb of bf16
v_add3_u32 v6, v[vgprValuC+77], v6, v9             // Non-Nan case: add lsb and the increment for rounding
v_cndmask_b32 v[vgprValuC+77], v6, v8, s[34:35]    // 
v_and_or_b32 v76, v[vgprValuC+77], v7, v[vgprValuC+76] // pack two bf16 to dword
v_cmp_u_f32 s[34:35], v[vgprValuC+78], v[vgprValuC+78] // check Nan
v_bfe_u32 v6, v[vgprValuC+78], 16, 1               // Non-Nan case: store lsb of bf16
v_add3_u32 v6, v[vgprValuC+78], v6, v9             // Non-Nan case: add lsb and the increment for rounding
v_cndmask_b32 v[vgprValuC+78], v6, v8, s[34:35]    // 
v_lshrrev_b32 v[vgprValuC+78], 16, v[vgprValuC+78] // convert C to bf16
v_cmp_u_f32 s[34:35], v[vgprValuC+79], v[vgprValuC+79] // check Nan
v_bfe_u32 v6, v[vgprValuC+79], 16, 1               // Non-Nan case: store lsb of bf16
v_add3_u32 v6, v[vgprValuC+79], v6, v9             // Non-Nan case: add lsb and the increment for rounding
v_cndmask_b32 v[vgprValuC+79], v6, v8, s[34:35]    // 
v_and_or_b32 v77, v[vgprValuC+79], v7, v[vgprValuC+78] // pack two bf16 to dword
s_mul_i32 s34, s[sgprStrideD1J], 50                // scale StrideD *= numRows(25) * bpe
s_add_u32  s[sgprSrdD+0], s[sgprSrdD+0], s34       // incToNextRow: gra SRD += inc(lower)
s_addc_u32  s[sgprSrdD+1], s[sgprSrdD+1], 0        // incToNextRow: gra SRD += inc(upper)
_buffer_store_b64 v[76:77], v10, s[sgprSrdD:sgprSrdD+3], 0, offen, offset:0,  sc0 sc1 // store D
v_cmp_u_f32 s[34:35], v[vgprValuC+80], v[vgprValuC+80] // check Nan
v_bfe_u32 v6, v[vgprValuC+80], 16, 1               // Non-Nan case: store lsb of bf16
v_add3_u32 v6, v[vgprValuC+80], v6, v9             // Non-Nan case: add lsb and the increment for rounding
v_cndmask_b32 v[vgprValuC+80], v6, v8, s[34:35]    // 
v_lshrrev_b32 v[vgprValuC+80], 16, v[vgprValuC+80] // convert C to bf16
v_cmp_u_f32 s[34:35], v[vgprValuC+81], v[vgprValuC+81] // check Nan
v_bfe_u32 v6, v[vgprValuC+81], 16, 1               // Non-Nan case: store lsb of bf16
v_add3_u32 v6, v[vgprValuC+81], v6, v9             // Non-Nan case: add lsb and the increment for rounding
v_cndmask_b32 v[vgprValuC+81], v6, v8, s[34:35]    // 
v_and_or_b32 v80, v[vgprValuC+81], v7, v[vgprValuC+80] // pack two bf16 to dword
v_cmp_u_f32 s[34:35], v[vgprValuC+82], v[vgprValuC+82] // check Nan
v_bfe_u32 v6, v[vgprValuC+82], 16, 1               // Non-Nan case: store lsb of bf16
v_add3_u32 v6, v[vgprValuC+82], v6, v9             // Non-Nan case: add lsb and the increment for rounding
v_cndmask_b32 v[vgprValuC+82], v6, v8, s[34:35]    // 
v_lshrrev_b32 v[vgprValuC+82], 16, v[vgprValuC+82] // convert C to bf16
v_cmp_u_f32 s[34:35], v[vgprValuC+83], v[vgprValuC+83] // check Nan
v_bfe_u32 v6, v[vgprValuC+83], 16, 1               // Non-Nan case: store lsb of bf16
v_add3_u32 v6, v[vgprValuC+83], v6, v9             // Non-Nan case: add lsb and the increment for rounding
v_cndmask_b32 v[vgprValuC+83], v6, v8, s[34:35]    // 
v_and_or_b32 v81, v[vgprValuC+83], v7, v[vgprValuC+82] // pack two bf16 to dword
s_lshl_b32  s34, s[sgprStrideD1J], 1               // incToNextRow: Scale by BPE
s_add_u32  s[sgprSrdD+0], s[sgprSrdD+0], s34       // incToNextRow: gra SRD += inc(lower)
s_addc_u32  s[sgprSrdD+1], s[sgprSrdD+1], 0        // incToNextRow: gra SRD += inc(upper)
_buffer_store_b64 v[80:81], v10, s[sgprSrdD:sgprSrdD+3], 0, offen, offset:0,  sc0 sc1 // store D
v_cmp_u_f32 s[34:35], v[vgprValuC+84], v[vgprValuC+84] // check Nan
v_bfe_u32 v6, v[vgprValuC+84], 16, 1               // Non-Nan case: store lsb of bf16
v_add3_u32 v6, v[vgprValuC+84], v6, v9             // Non-Nan case: add lsb and the increment for rounding
v_cndmask_b32 v[vgprValuC+84], v6, v8, s[34:35]    // 
v_lshrrev_b32 v[vgprValuC+84], 16, v[vgprValuC+84] // convert C to bf16
v_cmp_u_f32 s[34:35], v[vgprValuC+85], v[vgprValuC+85] // check Nan
v_bfe_u32 v6, v[vgprValuC+85], 16, 1               // Non-Nan case: store lsb of bf16
v_add3_u32 v6, v[vgprValuC+85], v6, v9             // Non-Nan case: add lsb and the increment for rounding
v_cndmask_b32 v[vgprValuC+85], v6, v8, s[34:35]    // 
v_and_or_b32 v84, v[vgprValuC+85], v7, v[vgprValuC+84] // pack two bf16 to dword
v_cmp_u_f32 s[34:35], v[vgprValuC+86], v[vgprValuC+86] // check Nan
v_bfe_u32 v6, v[vgprValuC+86], 16, 1               // Non-Nan case: store lsb of bf16
v_add3_u32 v6, v[vgprValuC+86], v6, v9             // Non-Nan case: add lsb and the increment for rounding
v_cndmask_b32 v[vgprValuC+86], v6, v8, s[34:35]    // 
v_lshrrev_b32 v[vgprValuC+86], 16, v[vgprValuC+86] // convert C to bf16
v_cmp_u_f32 s[34:35], v[vgprValuC+87], v[vgprValuC+87] // check Nan
v_bfe_u32 v6, v[vgprValuC+87], 16, 1               // Non-Nan case: store lsb of bf16
v_add3_u32 v6, v[vgprValuC+87], v6, v9             // Non-Nan case: add lsb and the increment for rounding
v_cndmask_b32 v[vgprValuC+87], v6, v8, s[34:35]    // 
v_and_or_b32 v85, v[vgprValuC+87], v7, v[vgprValuC+86] // pack two bf16 to dword
s_lshl_b32  s34, s[sgprStrideD1J], 1               // incToNextRow: Scale by BPE
	;; [unrolled: 24-line block ×5, first 2 shown]
s_add_u32  s[sgprSrdD+0], s[sgprSrdD+0], s34       // incToNextRow: gra SRD += inc(lower)
s_addc_u32  s[sgprSrdD+1], s[sgprSrdD+1], 0        // incToNextRow: gra SRD += inc(upper)
_buffer_store_b64 v[96:97], v10, s[sgprSrdD:sgprSrdD+3], 0, offen, offset:0,  sc0 sc1 // store D
v_cmp_u_f32 s[34:35], v[vgprValuC+100], v[vgprValuC+100] // check Nan
v_bfe_u32 v6, v[vgprValuC+100], 16, 1              // Non-Nan case: store lsb of bf16
v_add3_u32 v6, v[vgprValuC+100], v6, v9            // Non-Nan case: add lsb and the increment for rounding
v_cndmask_b32 v[vgprValuC+100], v6, v8, s[34:35]   // 
v_lshrrev_b32 v[vgprValuC+100], 16, v[vgprValuC+100] // convert C to bf16
v_cmp_u_f32 s[34:35], v[vgprValuC+101], v[vgprValuC+101] // check Nan
v_bfe_u32 v6, v[vgprValuC+101], 16, 1              // Non-Nan case: store lsb of bf16
v_add3_u32 v6, v[vgprValuC+101], v6, v9            // Non-Nan case: add lsb and the increment for rounding
v_cndmask_b32 v[vgprValuC+101], v6, v8, s[34:35]   // 
v_and_or_b32 v100, v[vgprValuC+101], v7, v[vgprValuC+100] // pack two bf16 to dword
v_cmp_u_f32 s[34:35], v[vgprValuC+102], v[vgprValuC+102] // check Nan
v_bfe_u32 v6, v[vgprValuC+102], 16, 1              // Non-Nan case: store lsb of bf16
v_add3_u32 v6, v[vgprValuC+102], v6, v9            // Non-Nan case: add lsb and the increment for rounding
v_cndmask_b32 v[vgprValuC+102], v6, v8, s[34:35]   // 
v_lshrrev_b32 v[vgprValuC+102], 16, v[vgprValuC+102] // convert C to bf16
v_cmp_u_f32 s[34:35], v[vgprValuC+103], v[vgprValuC+103] // check Nan
v_bfe_u32 v6, v[vgprValuC+103], 16, 1              // Non-Nan case: store lsb of bf16
v_add3_u32 v6, v[vgprValuC+103], v6, v9            // Non-Nan case: add lsb and the increment for rounding
v_cndmask_b32 v[vgprValuC+103], v6, v8, s[34:35]   // 
v_and_or_b32 v101, v[vgprValuC+103], v7, v[vgprValuC+102] // pack two bf16 to dword
s_lshl_b32  s34, s[sgprStrideD1J], 1               // incToNextRow: Scale by BPE
s_add_u32  s[sgprSrdD+0], s[sgprSrdD+0], s34       // incToNextRow: gra SRD += inc(lower)
s_addc_u32  s[sgprSrdD+1], s[sgprSrdD+1], 0        // incToNextRow: gra SRD += inc(upper)
_buffer_store_b64 v[100:101], v10, s[sgprSrdD:sgprSrdD+3], 0, offen, offset:0,  sc0 sc1 // store D
v_cmp_u_f32 s[34:35], v[vgprValuC+104], v[vgprValuC+104] // check Nan
v_bfe_u32 v6, v[vgprValuC+104], 16, 1              // Non-Nan case: store lsb of bf16
v_add3_u32 v6, v[vgprValuC+104], v6, v9            // Non-Nan case: add lsb and the increment for rounding
v_cndmask_b32 v[vgprValuC+104], v6, v8, s[34:35]   // 
v_lshrrev_b32 v[vgprValuC+104], 16, v[vgprValuC+104] // convert C to bf16
v_cmp_u_f32 s[34:35], v[vgprValuC+105], v[vgprValuC+105] // check Nan
v_bfe_u32 v6, v[vgprValuC+105], 16, 1              // Non-Nan case: store lsb of bf16
v_add3_u32 v6, v[vgprValuC+105], v6, v9            // Non-Nan case: add lsb and the increment for rounding
v_cndmask_b32 v[vgprValuC+105], v6, v8, s[34:35]   // 
v_and_or_b32 v104, v[vgprValuC+105], v7, v[vgprValuC+104] // pack two bf16 to dword
v_cmp_u_f32 s[34:35], v[vgprValuC+106], v[vgprValuC+106] // check Nan
v_bfe_u32 v6, v[vgprValuC+106], 16, 1              // Non-Nan case: store lsb of bf16
v_add3_u32 v6, v[vgprValuC+106], v6, v9            // Non-Nan case: add lsb and the increment for rounding
v_cndmask_b32 v[vgprValuC+106], v6, v8, s[34:35]   // 
v_lshrrev_b32 v[vgprValuC+106], 16, v[vgprValuC+106] // convert C to bf16
v_cmp_u_f32 s[34:35], v[vgprValuC+107], v[vgprValuC+107] // check Nan
v_bfe_u32 v6, v[vgprValuC+107], 16, 1              // Non-Nan case: store lsb of bf16
v_add3_u32 v6, v[vgprValuC+107], v6, v9            // Non-Nan case: add lsb and the increment for rounding
v_cndmask_b32 v[vgprValuC+107], v6, v8, s[34:35]   // 
v_and_or_b32 v105, v[vgprValuC+107], v7, v[vgprValuC+106] // pack two bf16 to dword
s_lshl_b32  s34, s[sgprStrideD1J], 1               // incToNextRow: Scale by BPE
s_add_u32  s[sgprSrdD+0], s[sgprSrdD+0], s34       // incToNextRow: gra SRD += inc(lower)
s_addc_u32  s[sgprSrdD+1], s[sgprSrdD+1], 0        // incToNextRow: gra SRD += inc(upper)
_buffer_store_b64 v[104:105], v10, s[sgprSrdD:sgprSrdD+3], 0, offen, offset:0,  sc0 sc1 // store D
v_cmp_u_f32 s[34:35], v[vgprValuC+108], v[vgprValuC+108] // check Nan
v_bfe_u32 v6, v[vgprValuC+108], 16, 1              // Non-Nan case: store lsb of bf16
v_add3_u32 v6, v[vgprValuC+108], v6, v9            // Non-Nan case: add lsb and the increment for rounding
v_cndmask_b32 v[vgprValuC+108], v6, v8, s[34:35]   // 
v_lshrrev_b32 v[vgprValuC+108], 16, v[vgprValuC+108] // convert C to bf16
v_cmp_u_f32 s[34:35], v[vgprValuC+109], v[vgprValuC+109] // check Nan
v_bfe_u32 v6, v[vgprValuC+109], 16, 1              // Non-Nan case: store lsb of bf16
v_add3_u32 v6, v[vgprValuC+109], v6, v9            // Non-Nan case: add lsb and the increment for rounding
v_cndmask_b32 v[vgprValuC+109], v6, v8, s[34:35]   // 
v_and_or_b32 v108, v[vgprValuC+109], v7, v[vgprValuC+108] // pack two bf16 to dword
v_cmp_u_f32 s[34:35], v[vgprValuC+110], v[vgprValuC+110] // check Nan
v_bfe_u32 v6, v[vgprValuC+110], 16, 1              // Non-Nan case: store lsb of bf16
v_add3_u32 v6, v[vgprValuC+110], v6, v9            // Non-Nan case: add lsb and the increment for rounding
v_cndmask_b32 v[vgprValuC+110], v6, v8, s[34:35]   // 
v_lshrrev_b32 v[vgprValuC+110], 16, v[vgprValuC+110] // convert C to bf16
v_cmp_u_f32 s[34:35], v[vgprValuC+111], v[vgprValuC+111] // check Nan
v_bfe_u32 v6, v[vgprValuC+111], 16, 1              // Non-Nan case: store lsb of bf16
v_add3_u32 v6, v[vgprValuC+111], v6, v9            // Non-Nan case: add lsb and the increment for rounding
v_cndmask_b32 v[vgprValuC+111], v6, v8, s[34:35]   // 
v_and_or_b32 v109, v[vgprValuC+111], v7, v[vgprValuC+110] // pack two bf16 to dword
s_mul_i32 s34, s[sgprStrideD1J], 50                // scale StrideD *= numRows(25) * bpe
s_add_u32  s[sgprSrdD+0], s[sgprSrdD+0], s34       // incToNextRow: gra SRD += inc(lower)
s_addc_u32  s[sgprSrdD+1], s[sgprSrdD+1], 0        // incToNextRow: gra SRD += inc(upper)
_buffer_store_b64 v[108:109], v10, s[sgprSrdD:sgprSrdD+3], 0, offen, offset:0,  sc0 sc1 // store D
v_cmp_u_f32 s[34:35], v[vgprValuC+112], v[vgprValuC+112] // check Nan
v_bfe_u32 v6, v[vgprValuC+112], 16, 1              // Non-Nan case: store lsb of bf16
v_add3_u32 v6, v[vgprValuC+112], v6, v9            // Non-Nan case: add lsb and the increment for rounding
v_cndmask_b32 v[vgprValuC+112], v6, v8, s[34:35]   // 
v_lshrrev_b32 v[vgprValuC+112], 16, v[vgprValuC+112] // convert C to bf16
v_cmp_u_f32 s[34:35], v[vgprValuC+113], v[vgprValuC+113] // check Nan
v_bfe_u32 v6, v[vgprValuC+113], 16, 1              // Non-Nan case: store lsb of bf16
v_add3_u32 v6, v[vgprValuC+113], v6, v9            // Non-Nan case: add lsb and the increment for rounding
v_cndmask_b32 v[vgprValuC+113], v6, v8, s[34:35]   // 
v_and_or_b32 v112, v[vgprValuC+113], v7, v[vgprValuC+112] // pack two bf16 to dword
v_cmp_u_f32 s[34:35], v[vgprValuC+114], v[vgprValuC+114] // check Nan
v_bfe_u32 v6, v[vgprValuC+114], 16, 1              // Non-Nan case: store lsb of bf16
v_add3_u32 v6, v[vgprValuC+114], v6, v9            // Non-Nan case: add lsb and the increment for rounding
v_cndmask_b32 v[vgprValuC+114], v6, v8, s[34:35]   // 
v_lshrrev_b32 v[vgprValuC+114], 16, v[vgprValuC+114] // convert C to bf16
v_cmp_u_f32 s[34:35], v[vgprValuC+115], v[vgprValuC+115] // check Nan
v_bfe_u32 v6, v[vgprValuC+115], 16, 1              // Non-Nan case: store lsb of bf16
v_add3_u32 v6, v[vgprValuC+115], v6, v9            // Non-Nan case: add lsb and the increment for rounding
v_cndmask_b32 v[vgprValuC+115], v6, v8, s[34:35]   // 
v_and_or_b32 v113, v[vgprValuC+115], v7, v[vgprValuC+114] // pack two bf16 to dword
s_lshl_b32  s34, s[sgprStrideD1J], 1               // incToNextRow: Scale by BPE
s_add_u32  s[sgprSrdD+0], s[sgprSrdD+0], s34       // incToNextRow: gra SRD += inc(lower)
s_addc_u32  s[sgprSrdD+1], s[sgprSrdD+1], 0        // incToNextRow: gra SRD += inc(upper)
_buffer_store_b64 v[112:113], v10, s[sgprSrdD:sgprSrdD+3], 0, offen, offset:0,  sc0 sc1 // store D
v_cmp_u_f32 s[34:35], v[vgprValuC+116], v[vgprValuC+116] // check Nan
v_bfe_u32 v6, v[vgprValuC+116], 16, 1              // Non-Nan case: store lsb of bf16
v_add3_u32 v6, v[vgprValuC+116], v6, v9            // Non-Nan case: add lsb and the increment for rounding
v_cndmask_b32 v[vgprValuC+116], v6, v8, s[34:35]   // 
v_lshrrev_b32 v[vgprValuC+116], 16, v[vgprValuC+116] // convert C to bf16
v_cmp_u_f32 s[34:35], v[vgprValuC+117], v[vgprValuC+117] // check Nan
v_bfe_u32 v6, v[vgprValuC+117], 16, 1              // Non-Nan case: store lsb of bf16
v_add3_u32 v6, v[vgprValuC+117], v6, v9            // Non-Nan case: add lsb and the increment for rounding
v_cndmask_b32 v[vgprValuC+117], v6, v8, s[34:35]   // 
v_and_or_b32 v116, v[vgprValuC+117], v7, v[vgprValuC+116] // pack two bf16 to dword
v_cmp_u_f32 s[34:35], v[vgprValuC+118], v[vgprValuC+118] // check Nan
v_bfe_u32 v6, v[vgprValuC+118], 16, 1              // Non-Nan case: store lsb of bf16
v_add3_u32 v6, v[vgprValuC+118], v6, v9            // Non-Nan case: add lsb and the increment for rounding
v_cndmask_b32 v[vgprValuC+118], v6, v8, s[34:35]   // 
v_lshrrev_b32 v[vgprValuC+118], 16, v[vgprValuC+118] // convert C to bf16
v_cmp_u_f32 s[34:35], v[vgprValuC+119], v[vgprValuC+119] // check Nan
v_bfe_u32 v6, v[vgprValuC+119], 16, 1              // Non-Nan case: store lsb of bf16
v_add3_u32 v6, v[vgprValuC+119], v6, v9            // Non-Nan case: add lsb and the increment for rounding
v_cndmask_b32 v[vgprValuC+119], v6, v8, s[34:35]   // 
v_and_or_b32 v117, v[vgprValuC+119], v7, v[vgprValuC+118] // pack two bf16 to dword
s_lshl_b32  s34, s[sgprStrideD1J], 1               // incToNextRow: Scale by BPE
	;; [unrolled: 24-line block ×7, first 2 shown]
s_add_u32  s[sgprSrdD+0], s[sgprSrdD+0], s34       // incToNextRow: gra SRD += inc(lower)
s_addc_u32  s[sgprSrdD+1], s[sgprSrdD+1], 0        // incToNextRow: gra SRD += inc(upper)
_buffer_store_b64 v[136:137], v10, s[sgprSrdD:sgprSrdD+3], 0, offen, offset:0,  sc0 sc1 // store D
v_cmp_u_f32 s[34:35], v[vgprValuC+140], v[vgprValuC+140] // check Nan
v_bfe_u32 v6, v[vgprValuC+140], 16, 1              // Non-Nan case: store lsb of bf16
v_add3_u32 v6, v[vgprValuC+140], v6, v9            // Non-Nan case: add lsb and the increment for rounding
v_cndmask_b32 v[vgprValuC+140], v6, v8, s[34:35]   // 
v_lshrrev_b32 v[vgprValuC+140], 16, v[vgprValuC+140] // convert C to bf16
v_cmp_u_f32 s[34:35], v[vgprValuC+141], v[vgprValuC+141] // check Nan
v_bfe_u32 v6, v[vgprValuC+141], 16, 1              // Non-Nan case: store lsb of bf16
v_add3_u32 v6, v[vgprValuC+141], v6, v9            // Non-Nan case: add lsb and the increment for rounding
v_cndmask_b32 v[vgprValuC+141], v6, v8, s[34:35]   // 
v_and_or_b32 v140, v[vgprValuC+141], v7, v[vgprValuC+140] // pack two bf16 to dword
v_cmp_u_f32 s[34:35], v[vgprValuC+142], v[vgprValuC+142] // check Nan
v_bfe_u32 v6, v[vgprValuC+142], 16, 1              // Non-Nan case: store lsb of bf16
v_add3_u32 v6, v[vgprValuC+142], v6, v9            // Non-Nan case: add lsb and the increment for rounding
v_cndmask_b32 v[vgprValuC+142], v6, v8, s[34:35]   // 
v_lshrrev_b32 v[vgprValuC+142], 16, v[vgprValuC+142] // convert C to bf16
v_cmp_u_f32 s[34:35], v[vgprValuC+143], v[vgprValuC+143] // check Nan
v_bfe_u32 v6, v[vgprValuC+143], 16, 1              // Non-Nan case: store lsb of bf16
v_add3_u32 v6, v[vgprValuC+143], v6, v9            // Non-Nan case: add lsb and the increment for rounding
v_cndmask_b32 v[vgprValuC+143], v6, v8, s[34:35]   // 
v_and_or_b32 v141, v[vgprValuC+143], v7, v[vgprValuC+142] // pack two bf16 to dword
s_mul_i32 s34, s[sgprStrideD1J], 50                // scale StrideD *= numRows(25) * bpe
s_add_u32  s[sgprSrdD+0], s[sgprSrdD+0], s34       // incToNextRow: gra SRD += inc(lower)
s_addc_u32  s[sgprSrdD+1], s[sgprSrdD+1], 0        // incToNextRow: gra SRD += inc(upper)
_buffer_store_b64 v[140:141], v10, s[sgprSrdD:sgprSrdD+3], 0, offen, offset:0,  sc0 sc1 // store D
v_cmp_u_f32 s[34:35], v[vgprValuC+144], v[vgprValuC+144] // check Nan
v_bfe_u32 v6, v[vgprValuC+144], 16, 1              // Non-Nan case: store lsb of bf16
v_add3_u32 v6, v[vgprValuC+144], v6, v9            // Non-Nan case: add lsb and the increment for rounding
v_cndmask_b32 v[vgprValuC+144], v6, v8, s[34:35]   // 
v_lshrrev_b32 v[vgprValuC+144], 16, v[vgprValuC+144] // convert C to bf16
v_cmp_u_f32 s[34:35], v[vgprValuC+145], v[vgprValuC+145] // check Nan
v_bfe_u32 v6, v[vgprValuC+145], 16, 1              // Non-Nan case: store lsb of bf16
v_add3_u32 v6, v[vgprValuC+145], v6, v9            // Non-Nan case: add lsb and the increment for rounding
v_cndmask_b32 v[vgprValuC+145], v6, v8, s[34:35]   // 
v_and_or_b32 v144, v[vgprValuC+145], v7, v[vgprValuC+144] // pack two bf16 to dword
v_cmp_u_f32 s[34:35], v[vgprValuC+146], v[vgprValuC+146] // check Nan
v_bfe_u32 v6, v[vgprValuC+146], 16, 1              // Non-Nan case: store lsb of bf16
v_add3_u32 v6, v[vgprValuC+146], v6, v9            // Non-Nan case: add lsb and the increment for rounding
v_cndmask_b32 v[vgprValuC+146], v6, v8, s[34:35]   // 
v_lshrrev_b32 v[vgprValuC+146], 16, v[vgprValuC+146] // convert C to bf16
v_cmp_u_f32 s[34:35], v[vgprValuC+147], v[vgprValuC+147] // check Nan
v_bfe_u32 v6, v[vgprValuC+147], 16, 1              // Non-Nan case: store lsb of bf16
v_add3_u32 v6, v[vgprValuC+147], v6, v9            // Non-Nan case: add lsb and the increment for rounding
v_cndmask_b32 v[vgprValuC+147], v6, v8, s[34:35]   // 
v_and_or_b32 v145, v[vgprValuC+147], v7, v[vgprValuC+146] // pack two bf16 to dword
s_lshl_b32  s34, s[sgprStrideD1J], 1               // incToNextRow: Scale by BPE
s_add_u32  s[sgprSrdD+0], s[sgprSrdD+0], s34       // incToNextRow: gra SRD += inc(lower)
s_addc_u32  s[sgprSrdD+1], s[sgprSrdD+1], 0        // incToNextRow: gra SRD += inc(upper)
_buffer_store_b64 v[144:145], v10, s[sgprSrdD:sgprSrdD+3], 0, offen, offset:0,  sc0 sc1 // store D
v_cmp_u_f32 s[34:35], v[vgprValuC+148], v[vgprValuC+148] // check Nan
v_bfe_u32 v6, v[vgprValuC+148], 16, 1              // Non-Nan case: store lsb of bf16
v_add3_u32 v6, v[vgprValuC+148], v6, v9            // Non-Nan case: add lsb and the increment for rounding
v_cndmask_b32 v[vgprValuC+148], v6, v8, s[34:35]   // 
v_lshrrev_b32 v[vgprValuC+148], 16, v[vgprValuC+148] // convert C to bf16
v_cmp_u_f32 s[34:35], v[vgprValuC+149], v[vgprValuC+149] // check Nan
v_bfe_u32 v6, v[vgprValuC+149], 16, 1              // Non-Nan case: store lsb of bf16
v_add3_u32 v6, v[vgprValuC+149], v6, v9            // Non-Nan case: add lsb and the increment for rounding
v_cndmask_b32 v[vgprValuC+149], v6, v8, s[34:35]   // 
v_and_or_b32 v148, v[vgprValuC+149], v7, v[vgprValuC+148] // pack two bf16 to dword
v_cmp_u_f32 s[34:35], v[vgprValuC+150], v[vgprValuC+150] // check Nan
v_bfe_u32 v6, v[vgprValuC+150], 16, 1              // Non-Nan case: store lsb of bf16
v_add3_u32 v6, v[vgprValuC+150], v6, v9            // Non-Nan case: add lsb and the increment for rounding
v_cndmask_b32 v[vgprValuC+150], v6, v8, s[34:35]   // 
v_lshrrev_b32 v[vgprValuC+150], 16, v[vgprValuC+150] // convert C to bf16
v_cmp_u_f32 s[34:35], v[vgprValuC+151], v[vgprValuC+151] // check Nan
v_bfe_u32 v6, v[vgprValuC+151], 16, 1              // Non-Nan case: store lsb of bf16
v_add3_u32 v6, v[vgprValuC+151], v6, v9            // Non-Nan case: add lsb and the increment for rounding
v_cndmask_b32 v[vgprValuC+151], v6, v8, s[34:35]   // 
v_and_or_b32 v149, v[vgprValuC+151], v7, v[vgprValuC+150] // pack two bf16 to dword
s_lshl_b32  s34, s[sgprStrideD1J], 1               // incToNextRow: Scale by BPE
	;; [unrolled: 24-line block ×7, first 2 shown]
s_add_u32  s[sgprSrdD+0], s[sgprSrdD+0], s34       // incToNextRow: gra SRD += inc(lower)
s_addc_u32  s[sgprSrdD+1], s[sgprSrdD+1], 0        // incToNextRow: gra SRD += inc(upper)
_buffer_store_b64 v[168:169], v10, s[sgprSrdD:sgprSrdD+3], 0, offen, offset:0,  sc0 sc1 // store D
v_cmp_u_f32 s[34:35], v[vgprValuC+172], v[vgprValuC+172] // check Nan
v_bfe_u32 v6, v[vgprValuC+172], 16, 1              // Non-Nan case: store lsb of bf16
v_add3_u32 v6, v[vgprValuC+172], v6, v9            // Non-Nan case: add lsb and the increment for rounding
v_cndmask_b32 v[vgprValuC+172], v6, v8, s[34:35]   // 
v_lshrrev_b32 v[vgprValuC+172], 16, v[vgprValuC+172] // convert C to bf16
v_cmp_u_f32 s[34:35], v[vgprValuC+173], v[vgprValuC+173] // check Nan
v_bfe_u32 v6, v[vgprValuC+173], 16, 1              // Non-Nan case: store lsb of bf16
v_add3_u32 v6, v[vgprValuC+173], v6, v9            // Non-Nan case: add lsb and the increment for rounding
v_cndmask_b32 v[vgprValuC+173], v6, v8, s[34:35]   // 
v_and_or_b32 v172, v[vgprValuC+173], v7, v[vgprValuC+172] // pack two bf16 to dword
v_cmp_u_f32 s[34:35], v[vgprValuC+174], v[vgprValuC+174] // check Nan
v_bfe_u32 v6, v[vgprValuC+174], 16, 1              // Non-Nan case: store lsb of bf16
v_add3_u32 v6, v[vgprValuC+174], v6, v9            // Non-Nan case: add lsb and the increment for rounding
v_cndmask_b32 v[vgprValuC+174], v6, v8, s[34:35]   // 
v_lshrrev_b32 v[vgprValuC+174], 16, v[vgprValuC+174] // convert C to bf16
v_cmp_u_f32 s[34:35], v[vgprValuC+175], v[vgprValuC+175] // check Nan
v_bfe_u32 v6, v[vgprValuC+175], 16, 1              // Non-Nan case: store lsb of bf16
v_add3_u32 v6, v[vgprValuC+175], v6, v9            // Non-Nan case: add lsb and the increment for rounding
v_cndmask_b32 v[vgprValuC+175], v6, v8, s[34:35]   // 
v_and_or_b32 v173, v[vgprValuC+175], v7, v[vgprValuC+174] // pack two bf16 to dword
s_mul_i32 s34, s[sgprStrideD1J], 50                // scale StrideD *= numRows(25) * bpe
s_add_u32  s[sgprSrdD+0], s[sgprSrdD+0], s34       // incToNextRow: gra SRD += inc(lower)
s_addc_u32  s[sgprSrdD+1], s[sgprSrdD+1], 0        // incToNextRow: gra SRD += inc(upper)
_buffer_store_b64 v[172:173], v10, s[sgprSrdD:sgprSrdD+3], 0, offen, offset:0,  sc0 sc1 // store D
v_cmp_u_f32 s[34:35], v[vgprValuC+176], v[vgprValuC+176] // check Nan
v_bfe_u32 v6, v[vgprValuC+176], 16, 1              // Non-Nan case: store lsb of bf16
v_add3_u32 v6, v[vgprValuC+176], v6, v9            // Non-Nan case: add lsb and the increment for rounding
v_cndmask_b32 v[vgprValuC+176], v6, v8, s[34:35]   // 
v_lshrrev_b32 v[vgprValuC+176], 16, v[vgprValuC+176] // convert C to bf16
v_cmp_u_f32 s[34:35], v[vgprValuC+177], v[vgprValuC+177] // check Nan
v_bfe_u32 v6, v[vgprValuC+177], 16, 1              // Non-Nan case: store lsb of bf16
v_add3_u32 v6, v[vgprValuC+177], v6, v9            // Non-Nan case: add lsb and the increment for rounding
v_cndmask_b32 v[vgprValuC+177], v6, v8, s[34:35]   // 
v_and_or_b32 v176, v[vgprValuC+177], v7, v[vgprValuC+176] // pack two bf16 to dword
v_cmp_u_f32 s[34:35], v[vgprValuC+178], v[vgprValuC+178] // check Nan
v_bfe_u32 v6, v[vgprValuC+178], 16, 1              // Non-Nan case: store lsb of bf16
v_add3_u32 v6, v[vgprValuC+178], v6, v9            // Non-Nan case: add lsb and the increment for rounding
v_cndmask_b32 v[vgprValuC+178], v6, v8, s[34:35]   // 
v_lshrrev_b32 v[vgprValuC+178], 16, v[vgprValuC+178] // convert C to bf16
v_cmp_u_f32 s[34:35], v[vgprValuC+179], v[vgprValuC+179] // check Nan
v_bfe_u32 v6, v[vgprValuC+179], 16, 1              // Non-Nan case: store lsb of bf16
v_add3_u32 v6, v[vgprValuC+179], v6, v9            // Non-Nan case: add lsb and the increment for rounding
v_cndmask_b32 v[vgprValuC+179], v6, v8, s[34:35]   // 
v_and_or_b32 v177, v[vgprValuC+179], v7, v[vgprValuC+178] // pack two bf16 to dword
s_lshl_b32  s34, s[sgprStrideD1J], 1               // incToNextRow: Scale by BPE
s_add_u32  s[sgprSrdD+0], s[sgprSrdD+0], s34       // incToNextRow: gra SRD += inc(lower)
s_addc_u32  s[sgprSrdD+1], s[sgprSrdD+1], 0        // incToNextRow: gra SRD += inc(upper)
_buffer_store_b64 v[176:177], v10, s[sgprSrdD:sgprSrdD+3], 0, offen, offset:0,  sc0 sc1 // store D
v_cmp_u_f32 s[34:35], v[vgprValuC+180], v[vgprValuC+180] // check Nan
v_bfe_u32 v6, v[vgprValuC+180], 16, 1              // Non-Nan case: store lsb of bf16
v_add3_u32 v6, v[vgprValuC+180], v6, v9            // Non-Nan case: add lsb and the increment for rounding
v_cndmask_b32 v[vgprValuC+180], v6, v8, s[34:35]   // 
v_lshrrev_b32 v[vgprValuC+180], 16, v[vgprValuC+180] // convert C to bf16
v_cmp_u_f32 s[34:35], v[vgprValuC+181], v[vgprValuC+181] // check Nan
v_bfe_u32 v6, v[vgprValuC+181], 16, 1              // Non-Nan case: store lsb of bf16
v_add3_u32 v6, v[vgprValuC+181], v6, v9            // Non-Nan case: add lsb and the increment for rounding
v_cndmask_b32 v[vgprValuC+181], v6, v8, s[34:35]   // 
v_and_or_b32 v180, v[vgprValuC+181], v7, v[vgprValuC+180] // pack two bf16 to dword
v_cmp_u_f32 s[34:35], v[vgprValuC+182], v[vgprValuC+182] // check Nan
v_bfe_u32 v6, v[vgprValuC+182], 16, 1              // Non-Nan case: store lsb of bf16
v_add3_u32 v6, v[vgprValuC+182], v6, v9            // Non-Nan case: add lsb and the increment for rounding
v_cndmask_b32 v[vgprValuC+182], v6, v8, s[34:35]   // 
v_lshrrev_b32 v[vgprValuC+182], 16, v[vgprValuC+182] // convert C to bf16
v_cmp_u_f32 s[34:35], v[vgprValuC+183], v[vgprValuC+183] // check Nan
v_bfe_u32 v6, v[vgprValuC+183], 16, 1              // Non-Nan case: store lsb of bf16
v_add3_u32 v6, v[vgprValuC+183], v6, v9            // Non-Nan case: add lsb and the increment for rounding
v_cndmask_b32 v[vgprValuC+183], v6, v8, s[34:35]   // 
v_and_or_b32 v181, v[vgprValuC+183], v7, v[vgprValuC+182] // pack two bf16 to dword
s_lshl_b32  s34, s[sgprStrideD1J], 1               // incToNextRow: Scale by BPE
	;; [unrolled: 24-line block ×7, first 2 shown]
s_add_u32  s[sgprSrdD+0], s[sgprSrdD+0], s34       // incToNextRow: gra SRD += inc(lower)
s_addc_u32  s[sgprSrdD+1], s[sgprSrdD+1], 0        // incToNextRow: gra SRD += inc(upper)
_buffer_store_b64 v[200:201], v10, s[sgprSrdD:sgprSrdD+3], 0, offen, offset:0,  sc0 sc1 // store D
v_cmp_u_f32 s[34:35], v[vgprValuC+204], v[vgprValuC+204] // check Nan
v_bfe_u32 v6, v[vgprValuC+204], 16, 1              // Non-Nan case: store lsb of bf16
v_add3_u32 v6, v[vgprValuC+204], v6, v9            // Non-Nan case: add lsb and the increment for rounding
v_cndmask_b32 v[vgprValuC+204], v6, v8, s[34:35]   // 
v_lshrrev_b32 v[vgprValuC+204], 16, v[vgprValuC+204] // convert C to bf16
v_cmp_u_f32 s[34:35], v[vgprValuC+205], v[vgprValuC+205] // check Nan
v_bfe_u32 v6, v[vgprValuC+205], 16, 1              // Non-Nan case: store lsb of bf16
v_add3_u32 v6, v[vgprValuC+205], v6, v9            // Non-Nan case: add lsb and the increment for rounding
v_cndmask_b32 v[vgprValuC+205], v6, v8, s[34:35]   // 
v_and_or_b32 v204, v[vgprValuC+205], v7, v[vgprValuC+204] // pack two bf16 to dword
v_cmp_u_f32 s[34:35], v[vgprValuC+206], v[vgprValuC+206] // check Nan
v_bfe_u32 v6, v[vgprValuC+206], 16, 1              // Non-Nan case: store lsb of bf16
v_add3_u32 v6, v[vgprValuC+206], v6, v9            // Non-Nan case: add lsb and the increment for rounding
v_cndmask_b32 v[vgprValuC+206], v6, v8, s[34:35]   // 
v_lshrrev_b32 v[vgprValuC+206], 16, v[vgprValuC+206] // convert C to bf16
v_cmp_u_f32 s[34:35], v[vgprValuC+207], v[vgprValuC+207] // check Nan
v_bfe_u32 v6, v[vgprValuC+207], 16, 1              // Non-Nan case: store lsb of bf16
v_add3_u32 v6, v[vgprValuC+207], v6, v9            // Non-Nan case: add lsb and the increment for rounding
v_cndmask_b32 v[vgprValuC+207], v6, v8, s[34:35]   // 
v_and_or_b32 v205, v[vgprValuC+207], v7, v[vgprValuC+206] // pack two bf16 to dword
s_mul_i32 s34, s[sgprStrideD1J], 50                // scale StrideD *= numRows(25) * bpe
s_add_u32  s[sgprSrdD+0], s[sgprSrdD+0], s34       // incToNextRow: gra SRD += inc(lower)
s_addc_u32  s[sgprSrdD+1], s[sgprSrdD+1], 0        // incToNextRow: gra SRD += inc(upper)
_buffer_store_b64 v[204:205], v10, s[sgprSrdD:sgprSrdD+3], 0, offen, offset:0,  sc0 sc1 // store D
v_cmp_u_f32 s[34:35], v[vgprValuC+208], v[vgprValuC+208] // check Nan
v_bfe_u32 v6, v[vgprValuC+208], 16, 1              // Non-Nan case: store lsb of bf16
v_add3_u32 v6, v[vgprValuC+208], v6, v9            // Non-Nan case: add lsb and the increment for rounding
v_cndmask_b32 v[vgprValuC+208], v6, v8, s[34:35]   // 
v_lshrrev_b32 v[vgprValuC+208], 16, v[vgprValuC+208] // convert C to bf16
v_cmp_u_f32 s[34:35], v[vgprValuC+209], v[vgprValuC+209] // check Nan
v_bfe_u32 v6, v[vgprValuC+209], 16, 1              // Non-Nan case: store lsb of bf16
v_add3_u32 v6, v[vgprValuC+209], v6, v9            // Non-Nan case: add lsb and the increment for rounding
v_cndmask_b32 v[vgprValuC+209], v6, v8, s[34:35]   // 
v_and_or_b32 v208, v[vgprValuC+209], v7, v[vgprValuC+208] // pack two bf16 to dword
v_cmp_u_f32 s[34:35], v[vgprValuC+210], v[vgprValuC+210] // check Nan
v_bfe_u32 v6, v[vgprValuC+210], 16, 1              // Non-Nan case: store lsb of bf16
v_add3_u32 v6, v[vgprValuC+210], v6, v9            // Non-Nan case: add lsb and the increment for rounding
v_cndmask_b32 v[vgprValuC+210], v6, v8, s[34:35]   // 
v_lshrrev_b32 v[vgprValuC+210], 16, v[vgprValuC+210] // convert C to bf16
v_cmp_u_f32 s[34:35], v[vgprValuC+211], v[vgprValuC+211] // check Nan
v_bfe_u32 v6, v[vgprValuC+211], 16, 1              // Non-Nan case: store lsb of bf16
v_add3_u32 v6, v[vgprValuC+211], v6, v9            // Non-Nan case: add lsb and the increment for rounding
v_cndmask_b32 v[vgprValuC+211], v6, v8, s[34:35]   // 
v_and_or_b32 v209, v[vgprValuC+211], v7, v[vgprValuC+210] // pack two bf16 to dword
s_lshl_b32  s34, s[sgprStrideD1J], 1               // incToNextRow: Scale by BPE
s_add_u32  s[sgprSrdD+0], s[sgprSrdD+0], s34       // incToNextRow: gra SRD += inc(lower)
s_addc_u32  s[sgprSrdD+1], s[sgprSrdD+1], 0        // incToNextRow: gra SRD += inc(upper)
_buffer_store_b64 v[208:209], v10, s[sgprSrdD:sgprSrdD+3], 0, offen, offset:0,  sc0 sc1 // store D
v_cmp_u_f32 s[34:35], v[vgprValuC+212], v[vgprValuC+212] // check Nan
v_bfe_u32 v6, v[vgprValuC+212], 16, 1              // Non-Nan case: store lsb of bf16
v_add3_u32 v6, v[vgprValuC+212], v6, v9            // Non-Nan case: add lsb and the increment for rounding
v_cndmask_b32 v[vgprValuC+212], v6, v8, s[34:35]   // 
v_lshrrev_b32 v[vgprValuC+212], 16, v[vgprValuC+212] // convert C to bf16
v_cmp_u_f32 s[34:35], v[vgprValuC+213], v[vgprValuC+213] // check Nan
v_bfe_u32 v6, v[vgprValuC+213], 16, 1              // Non-Nan case: store lsb of bf16
v_add3_u32 v6, v[vgprValuC+213], v6, v9            // Non-Nan case: add lsb and the increment for rounding
v_cndmask_b32 v[vgprValuC+213], v6, v8, s[34:35]   // 
v_and_or_b32 v212, v[vgprValuC+213], v7, v[vgprValuC+212] // pack two bf16 to dword
v_cmp_u_f32 s[34:35], v[vgprValuC+214], v[vgprValuC+214] // check Nan
v_bfe_u32 v6, v[vgprValuC+214], 16, 1              // Non-Nan case: store lsb of bf16
v_add3_u32 v6, v[vgprValuC+214], v6, v9            // Non-Nan case: add lsb and the increment for rounding
v_cndmask_b32 v[vgprValuC+214], v6, v8, s[34:35]   // 
v_lshrrev_b32 v[vgprValuC+214], 16, v[vgprValuC+214] // convert C to bf16
v_cmp_u_f32 s[34:35], v[vgprValuC+215], v[vgprValuC+215] // check Nan
v_bfe_u32 v6, v[vgprValuC+215], 16, 1              // Non-Nan case: store lsb of bf16
v_add3_u32 v6, v[vgprValuC+215], v6, v9            // Non-Nan case: add lsb and the increment for rounding
v_cndmask_b32 v[vgprValuC+215], v6, v8, s[34:35]   // 
v_and_or_b32 v213, v[vgprValuC+215], v7, v[vgprValuC+214] // pack two bf16 to dword
s_lshl_b32  s34, s[sgprStrideD1J], 1               // incToNextRow: Scale by BPE
	;; [unrolled: 24-line block ×7, first 2 shown]
s_add_u32  s[sgprSrdD+0], s[sgprSrdD+0], s34       // incToNextRow: gra SRD += inc(lower)
s_addc_u32  s[sgprSrdD+1], s[sgprSrdD+1], 0        // incToNextRow: gra SRD += inc(upper)
_buffer_store_b64 v[236:237], v10, s[sgprSrdD:sgprSrdD+3], 0, offen, offset:0,  sc0 sc1 // store D
v_cmp_u_f32 s[34:35], v[vgprValuC+240], v[vgprValuC+240] // check Nan
v_bfe_u32 v6, v[vgprValuC+240], 16, 1              // Non-Nan case: store lsb of bf16
v_add3_u32 v6, v[vgprValuC+240], v6, v9            // Non-Nan case: add lsb and the increment for rounding
v_cndmask_b32 v[vgprValuC+240], v6, v8, s[34:35]   // 
v_lshrrev_b32 v[vgprValuC+240], 16, v[vgprValuC+240] // convert C to bf16
v_cmp_u_f32 s[34:35], v[vgprValuC+241], v[vgprValuC+241] // check Nan
v_bfe_u32 v6, v[vgprValuC+241], 16, 1              // Non-Nan case: store lsb of bf16
v_add3_u32 v6, v[vgprValuC+241], v6, v9            // Non-Nan case: add lsb and the increment for rounding
v_cndmask_b32 v[vgprValuC+241], v6, v8, s[34:35]   // 
v_and_or_b32 v240, v[vgprValuC+241], v7, v[vgprValuC+240] // pack two bf16 to dword
v_cmp_u_f32 s[34:35], v[vgprValuC+242], v[vgprValuC+242] // check Nan
v_bfe_u32 v6, v[vgprValuC+242], 16, 1              // Non-Nan case: store lsb of bf16
v_add3_u32 v6, v[vgprValuC+242], v6, v9            // Non-Nan case: add lsb and the increment for rounding
v_cndmask_b32 v[vgprValuC+242], v6, v8, s[34:35]   // 
v_lshrrev_b32 v[vgprValuC+242], 16, v[vgprValuC+242] // convert C to bf16
v_cmp_u_f32 s[34:35], v[vgprValuC+243], v[vgprValuC+243] // check Nan
v_bfe_u32 v6, v[vgprValuC+243], 16, 1              // Non-Nan case: store lsb of bf16
v_add3_u32 v6, v[vgprValuC+243], v6, v9            // Non-Nan case: add lsb and the increment for rounding
v_cndmask_b32 v[vgprValuC+243], v6, v8, s[34:35]   // 
v_and_or_b32 v241, v[vgprValuC+243], v7, v[vgprValuC+242] // pack two bf16 to dword
s_mul_i32 s34, s[sgprStrideD1J], 50                // scale StrideD *= numRows(25) * bpe
s_add_u32  s[sgprSrdD+0], s[sgprSrdD+0], s34       // incToNextRow: gra SRD += inc(lower)
s_addc_u32  s[sgprSrdD+1], s[sgprSrdD+1], 0        // incToNextRow: gra SRD += inc(upper)
_buffer_store_b64 v[240:241], v10, s[sgprSrdD:sgprSrdD+3], 0, offen, offset:0,  sc0 sc1 // store D
v_cmp_u_f32 s[34:35], v[vgprValuC+244], v[vgprValuC+244] // check Nan
v_bfe_u32 v6, v[vgprValuC+244], 16, 1              // Non-Nan case: store lsb of bf16
v_add3_u32 v6, v[vgprValuC+244], v6, v9            // Non-Nan case: add lsb and the increment for rounding
v_cndmask_b32 v[vgprValuC+244], v6, v8, s[34:35]   // 
v_lshrrev_b32 v[vgprValuC+244], 16, v[vgprValuC+244] // convert C to bf16
v_cmp_u_f32 s[34:35], v[vgprValuC+245], v[vgprValuC+245] // check Nan
v_bfe_u32 v6, v[vgprValuC+245], 16, 1              // Non-Nan case: store lsb of bf16
v_add3_u32 v6, v[vgprValuC+245], v6, v9            // Non-Nan case: add lsb and the increment for rounding
v_cndmask_b32 v[vgprValuC+245], v6, v8, s[34:35]   // 
v_and_or_b32 v244, v[vgprValuC+245], v7, v[vgprValuC+244] // pack two bf16 to dword
v_cmp_u_f32 s[34:35], v[vgprValuC+246], v[vgprValuC+246] // check Nan
v_bfe_u32 v6, v[vgprValuC+246], 16, 1              // Non-Nan case: store lsb of bf16
v_add3_u32 v6, v[vgprValuC+246], v6, v9            // Non-Nan case: add lsb and the increment for rounding
v_cndmask_b32 v[vgprValuC+246], v6, v8, s[34:35]   // 
v_lshrrev_b32 v[vgprValuC+246], 16, v[vgprValuC+246] // convert C to bf16
v_cmp_u_f32 s[34:35], v[vgprValuC+247], v[vgprValuC+247] // check Nan
v_bfe_u32 v6, v[vgprValuC+247], 16, 1              // Non-Nan case: store lsb of bf16
v_add3_u32 v6, v[vgprValuC+247], v6, v9            // Non-Nan case: add lsb and the increment for rounding
v_cndmask_b32 v[vgprValuC+247], v6, v8, s[34:35]   // 
v_and_or_b32 v245, v[vgprValuC+247], v7, v[vgprValuC+246] // pack two bf16 to dword
s_lshl_b32  s34, s[sgprStrideD1J], 1               // incToNextRow: Scale by BPE
s_add_u32  s[sgprSrdD+0], s[sgprSrdD+0], s34       // incToNextRow: gra SRD += inc(lower)
s_addc_u32  s[sgprSrdD+1], s[sgprSrdD+1], 0        // incToNextRow: gra SRD += inc(upper)
_buffer_store_b64 v[244:245], v10, s[sgprSrdD:sgprSrdD+3], 0, offen, offset:0,  sc0 sc1 // store D
v_cmp_u_f32 s[34:35], v[vgprValuC+248], v[vgprValuC+248] // check Nan
v_bfe_u32 v6, v[vgprValuC+248], 16, 1              // Non-Nan case: store lsb of bf16
v_add3_u32 v6, v[vgprValuC+248], v6, v9            // Non-Nan case: add lsb and the increment for rounding
v_cndmask_b32 v[vgprValuC+248], v6, v8, s[34:35]   // 
v_lshrrev_b32 v[vgprValuC+248], 16, v[vgprValuC+248] // convert C to bf16
v_cmp_u_f32 s[34:35], v[vgprValuC+249], v[vgprValuC+249] // check Nan
v_bfe_u32 v6, v[vgprValuC+249], 16, 1              // Non-Nan case: store lsb of bf16
v_add3_u32 v6, v[vgprValuC+249], v6, v9            // Non-Nan case: add lsb and the increment for rounding
v_cndmask_b32 v[vgprValuC+249], v6, v8, s[34:35]   // 
v_and_or_b32 v248, v[vgprValuC+249], v7, v[vgprValuC+248] // pack two bf16 to dword
v_cmp_u_f32 s[34:35], v[vgprValuC+250], v[vgprValuC+250] // check Nan
v_bfe_u32 v6, v[vgprValuC+250], 16, 1              // Non-Nan case: store lsb of bf16
v_add3_u32 v6, v[vgprValuC+250], v6, v9            // Non-Nan case: add lsb and the increment for rounding
v_cndmask_b32 v[vgprValuC+250], v6, v8, s[34:35]   // 
v_lshrrev_b32 v[vgprValuC+250], 16, v[vgprValuC+250] // convert C to bf16
v_cmp_u_f32 s[34:35], v[vgprValuC+251], v[vgprValuC+251] // check Nan
v_bfe_u32 v6, v[vgprValuC+251], 16, 1              // Non-Nan case: store lsb of bf16
v_add3_u32 v6, v[vgprValuC+251], v6, v9            // Non-Nan case: add lsb and the increment for rounding
v_cndmask_b32 v[vgprValuC+251], v6, v8, s[34:35]   // 
v_and_or_b32 v249, v[vgprValuC+251], v7, v[vgprValuC+250] // pack two bf16 to dword
s_lshl_b32  s34, s[sgprStrideD1J], 1               // incToNextRow: Scale by BPE
	;; [unrolled: 24-line block ×3, first 2 shown]
s_add_u32  s[sgprSrdD+0], s[sgprSrdD+0], s34       // incToNextRow: gra SRD += inc(lower)
s_addc_u32  s[sgprSrdD+1], s[sgprSrdD+1], 0        // incToNextRow: gra SRD += inc(upper)
_buffer_store_b64 v[252:253], v10, s[sgprSrdD:sgprSrdD+3], 0, offen, offset:0,  sc0 sc1 // store D
s_nop 0                                            // 1 wait state required when next inst writes vgprs held by previous dwordx4 store inst
/* optSingleColVgpr=1 optSharedColVgpr=0 optSGPRUsage=BufferLoad_Mask optSrdIncForRow=1 */

/******************************************/
/* Global Write Alpha Batch #1 (d1,d0,vc1,vc0) = */
/*    (7,0,4,0:vw4); (7,0,5,0:vw4); (7,0,6,0:vw4); (7,0,7,0:vw4) */
/******************************************/

/* calc coords, apply mask, and issue loads (if necessary) */
/* (d1,vc1,d0,vc0)=(7,4,0,0) */
/* (d1,vc1,d0,vc0)=(7,5,0,0) */
	;; [unrolled: 1-line block ×4, first 2 shown]
v_accvgpr_read_b32 v[vgprValuC+12], acc226 // copy acc to vreg[240]
v_accvgpr_read_b32 v[vgprValuC+13], acc230 // copy acc to vreg[241]
v_accvgpr_read_b32 v[vgprValuC+14], acc234 // copy acc to vreg[242]
v_accvgpr_read_b32 v[vgprValuC+15], acc238 // copy acc to vreg[243]
v_accvgpr_read_b32 v[vgprValuC+16], acc242 // copy acc to vreg[244]
v_accvgpr_read_b32 v[vgprValuC+17], acc246 // copy acc to vreg[245]
v_accvgpr_read_b32 v[vgprValuC+18], acc250 // copy acc to vreg[246]
v_accvgpr_read_b32 v[vgprValuC+19], acc254 // copy acc to vreg[247]
v_accvgpr_read_b32 v[vgprValuC+20], acc227 // copy acc to vreg[248]
v_accvgpr_read_b32 v[vgprValuC+21], acc231 // copy acc to vreg[249]
v_accvgpr_read_b32 v[vgprValuC+22], acc235 // copy acc to vreg[250]
v_accvgpr_read_b32 v[vgprValuC+23], acc239 // copy acc to vreg[251]
v_accvgpr_read_b32 v[vgprValuC+24], acc243 // copy acc to vreg[252]
v_accvgpr_read_b32 v[vgprValuC+25], acc247 // copy acc to vreg[253]
v_accvgpr_read_b32 v[vgprValuC+26], acc251 // copy acc to vreg[254]
v_accvgpr_read_b32 v[vgprValuC+27], acc255 // copy acc to vreg[255]
s_nop 1                                            // 2 wait states required before reading vgpr

/* rC *= alpha batchElements=[(7, 0, 4, 0), (7, 0, 5, 0), (7, 0, 6, 0), (7, 0, 7, 0)] */
v_mul_f32 v[vgprValuC+12], s[sgprAlpha], v[vgprValuC+12] // *= alpha
v_mul_f32 v[vgprValuC+13], s[sgprAlpha], v[vgprValuC+13] // *= alpha
	;; [unrolled: 1-line block ×16, first 2 shown]

/* apply mask, calc new C and issue writes */
v_mov_b32 v7, 0xffff0000                           // mask for pack two bfloat16 element to 32bit
v_mov_b32 v8, 0x7fff0000                           // fp32 Nan
v_mov_b32 v9, 0x7fff                               // rounding bias for bfloat16
v_cmp_u_f32 s[34:35], v[vgprValuC+12], v[vgprValuC+12] // check Nan
v_bfe_u32 v6, v[vgprValuC+12], 16, 1               // Non-Nan case: store lsb of bf16
v_add3_u32 v6, v[vgprValuC+12], v6, v9             // Non-Nan case: add lsb and the increment for rounding
v_cndmask_b32 v[vgprValuC+12], v6, v8, s[34:35]    // 
v_lshrrev_b32 v[vgprValuC+12], 16, v[vgprValuC+12] // convert C to bf16
v_cmp_u_f32 s[34:35], v[vgprValuC+13], v[vgprValuC+13] // check Nan
v_bfe_u32 v6, v[vgprValuC+13], 16, 1               // Non-Nan case: store lsb of bf16
v_add3_u32 v6, v[vgprValuC+13], v6, v9             // Non-Nan case: add lsb and the increment for rounding
v_cndmask_b32 v[vgprValuC+13], v6, v8, s[34:35]    // 
v_and_or_b32 v12, v[vgprValuC+13], v7, v[vgprValuC+12] // pack two bf16 to dword
v_cmp_u_f32 s[34:35], v[vgprValuC+14], v[vgprValuC+14] // check Nan
v_bfe_u32 v6, v[vgprValuC+14], 16, 1               // Non-Nan case: store lsb of bf16
v_add3_u32 v6, v[vgprValuC+14], v6, v9             // Non-Nan case: add lsb and the increment for rounding
v_cndmask_b32 v[vgprValuC+14], v6, v8, s[34:35]    // 
v_lshrrev_b32 v[vgprValuC+14], 16, v[vgprValuC+14] // convert C to bf16
v_cmp_u_f32 s[34:35], v[vgprValuC+15], v[vgprValuC+15] // check Nan
v_bfe_u32 v6, v[vgprValuC+15], 16, 1               // Non-Nan case: store lsb of bf16
v_add3_u32 v6, v[vgprValuC+15], v6, v9             // Non-Nan case: add lsb and the increment for rounding
v_cndmask_b32 v[vgprValuC+15], v6, v8, s[34:35]    // 
v_and_or_b32 v13, v[vgprValuC+15], v7, v[vgprValuC+14] // pack two bf16 to dword
s_lshl_b32  s34, s[sgprStrideD1J], 1               // incToNextRow: Scale by BPE
s_add_u32  s[sgprSrdD+0], s[sgprSrdD+0], s34       // incToNextRow: gra SRD += inc(lower)
s_addc_u32  s[sgprSrdD+1], s[sgprSrdD+1], 0        // incToNextRow: gra SRD += inc(upper)
_buffer_store_b64 v[12:13], v10, s[sgprSrdD:sgprSrdD+3], 0, offen, offset:0,  sc0 sc1 // store D
v_cmp_u_f32 s[34:35], v[vgprValuC+16], v[vgprValuC+16] // check Nan
v_bfe_u32 v6, v[vgprValuC+16], 16, 1               // Non-Nan case: store lsb of bf16
v_add3_u32 v6, v[vgprValuC+16], v6, v9             // Non-Nan case: add lsb and the increment for rounding
v_cndmask_b32 v[vgprValuC+16], v6, v8, s[34:35]    // 
v_lshrrev_b32 v[vgprValuC+16], 16, v[vgprValuC+16] // convert C to bf16
v_cmp_u_f32 s[34:35], v[vgprValuC+17], v[vgprValuC+17] // check Nan
v_bfe_u32 v6, v[vgprValuC+17], 16, 1               // Non-Nan case: store lsb of bf16
v_add3_u32 v6, v[vgprValuC+17], v6, v9             // Non-Nan case: add lsb and the increment for rounding
v_cndmask_b32 v[vgprValuC+17], v6, v8, s[34:35]    // 
v_and_or_b32 v16, v[vgprValuC+17], v7, v[vgprValuC+16] // pack two bf16 to dword
v_cmp_u_f32 s[34:35], v[vgprValuC+18], v[vgprValuC+18] // check Nan
v_bfe_u32 v6, v[vgprValuC+18], 16, 1               // Non-Nan case: store lsb of bf16
v_add3_u32 v6, v[vgprValuC+18], v6, v9             // Non-Nan case: add lsb and the increment for rounding
v_cndmask_b32 v[vgprValuC+18], v6, v8, s[34:35]    // 
v_lshrrev_b32 v[vgprValuC+18], 16, v[vgprValuC+18] // convert C to bf16
v_cmp_u_f32 s[34:35], v[vgprValuC+19], v[vgprValuC+19] // check Nan
v_bfe_u32 v6, v[vgprValuC+19], 16, 1               // Non-Nan case: store lsb of bf16
v_add3_u32 v6, v[vgprValuC+19], v6, v9             // Non-Nan case: add lsb and the increment for rounding
v_cndmask_b32 v[vgprValuC+19], v6, v8, s[34:35]    // 
v_and_or_b32 v17, v[vgprValuC+19], v7, v[vgprValuC+18] // pack two bf16 to dword
s_lshl_b32  s34, s[sgprStrideD1J], 1               // incToNextRow: Scale by BPE
s_add_u32  s[sgprSrdD+0], s[sgprSrdD+0], s34       // incToNextRow: gra SRD += inc(lower)
s_addc_u32  s[sgprSrdD+1], s[sgprSrdD+1], 0        // incToNextRow: gra SRD += inc(upper)
_buffer_store_b64 v[16:17], v10, s[sgprSrdD:sgprSrdD+3], 0, offen, offset:0,  sc0 sc1 // store D
	;; [unrolled: 24-line block ×4, first 2 shown]
s_nop 0                                            // 1 wait state required when next inst writes vgprs held by previous dwordx4 store inst
s_branch label_GW_End_58                           // jump to end
GW_B0_E1_50:

/* edge=1, allocate 6 sgpr. perBatchTmpS=4 perBatchMaskS=2 perElementMaskS=0 elementsPerBatch=122 */
/* optSingleColVgpr=0 optSharedColVgpr=0 optSGPRUsage=BufferLoad_Edge_Mask optSrdIncForRow=0 */

/******************************************/
/* Global Write Alpha Edge Batch #0 (d1,d0,vc1,vc0) = */
/*    (0,0,0,0:vw1); (0,0,0,1:vw1); (0,0,0,2:vw1); (0,0,0,3:vw1); (0,0,1,0:vw1); (0,0,1,1:vw1); (0,0,1,2:vw1); (0,0,1,3:vw1); (0,0,2,0:vw1); (0,0,2,1:vw1); (0,0,2,2:vw1); (0,0,2,3:vw1); (0,0,3,0:vw1); (0,0,3,1:vw1); (0,0,3,2:vw1); (0,0,3,3:vw1); (0,0,4,0:vw1); (0,0,4,1:vw1); (0,0,4,2:vw1); (0,0,4,3:vw1); (0,0,5,0:vw1); (0,0,5,1:vw1); (0,0,5,2:vw1); (0,0,5,3:vw1); (0,0,6,0:vw1); (0,0,6,1:vw1); (0,0,6,2:vw1); (0,0,6,3:vw1); (0,0,7,0:vw1); (0,0,7,1:vw1); (0,0,7,2:vw1); (0,0,7,3:vw1); (1,0,0,0:vw1); (1,0,0,1:vw1); (1,0,0,2:vw1); (1,0,0,3:vw1); (1,0,1,0:vw1); (1,0,1,1:vw1); (1,0,1,2:vw1); (1,0,1,3:vw1); (1,0,2,0:vw1); (1,0,2,1:vw1); (1,0,2,2:vw1); (1,0,2,3:vw1); (1,0,3,0:vw1); (1,0,3,1:vw1); (1,0,3,2:vw1); (1,0,3,3:vw1); (1,0,4,0:vw1); (1,0,4,1:vw1); (1,0,4,2:vw1); (1,0,4,3:vw1); (1,0,5,0:vw1); (1,0,5,1:vw1); (1,0,5,2:vw1); (1,0,5,3:vw1); (1,0,6,0:vw1); (1,0,6,1:vw1); (1,0,6,2:vw1); (1,0,6,3:vw1); (1,0,7,0:vw1); (1,0,7,1:vw1); (1,0,7,2:vw1); (1,0,7,3:vw1); (2,0,0,0:vw1); (2,0,0,1:vw1); (2,0,0,2:vw1); (2,0,0,3:vw1); (2,0,1,0:vw1); (2,0,1,1:vw1); (2,0,1,2:vw1); (2,0,1,3:vw1); (2,0,2,0:vw1); (2,0,2,1:vw1); (2,0,2,2:vw1); (2,0,2,3:vw1); (2,0,3,0:vw1); (2,0,3,1:vw1); (2,0,3,2:vw1); (2,0,3,3:vw1); (2,0,4,0:vw1); (2,0,4,1:vw1); (2,0,4,2:vw1); (2,0,4,3:vw1); (2,0,5,0:vw1); (2,0,5,1:vw1); (2,0,5,2:vw1); (2,0,5,3:vw1); (2,0,6,0:vw1); (2,0,6,1:vw1); (2,0,6,2:vw1); (2,0,6,3:vw1); (2,0,7,0:vw1); (2,0,7,1:vw1); (2,0,7,2:vw1); (2,0,7,3:vw1); (3,0,0,0:vw1); (3,0,0,1:vw1); (3,0,0,2:vw1); (3,0,0,3:vw1); (3,0,1,0:vw1); (3,0,1,1:vw1); (3,0,1,2:vw1); (3,0,1,3:vw1); (3,0,2,0:vw1); (3,0,2,1:vw1); (3,0,2,2:vw1); (3,0,2,3:vw1); (3,0,3,0:vw1); (3,0,3,1:vw1); (3,0,3,2:vw1); (3,0,3,3:vw1); (3,0,4,0:vw1); (3,0,4,1:vw1); (3,0,4,2:vw1); (3,0,4,3:vw1); (3,0,5,0:vw1); (3,0,5,1:vw1); (3,0,5,2:vw1); (3,0,5,3:vw1); (3,0,6,0:vw1); (3,0,6,1:vw1) */
/******************************************/

/* calc coords, apply mask, and issue loads (if necessary) */
/* (d1,vc1,d0,vc0)=(0,0,0,0) */
v_cmp_lt_u32 s[52:53], v0, s[sgprSizeI]            // coord0 < size0
v_cmp_lt_u32 s[56:57], v1, s[sgprSizeJ]            // coord1 < size1
s_and_b64 s[56:57], s[52:53], s[56:57]             // in0 && in1
_v_add_lshl_u32 v10, v3, v0, 0x1                   // scaleToBpe: accumulate d0 lower and *= bpe into Cin addr
v_cndmask_b32 v10, -1, v10, s[56:57]               // LDD clip if OOB. offset
/* (d1,vc1,d0,vc0)=(0,0,0,1) */
_v_add_co_u32 v4, vcc, v0, 1                       // coord0.1: coord0 += d0*sg0*VW + vc0
v_cmp_lt_u32 s[52:53], v4, s[sgprSizeI]            // coord0 < size0
v_cmp_lt_u32 s[56:57], v1, s[sgprSizeJ]            // coord1 < size1
s_and_b64 s[56:57], s[52:53], s[56:57]             // in0 && in1
_v_add_lshl_u32 v12, v3, v4, 0x1                   // scaleToBpe: accumulate d0 lower and *= bpe into Cin addr
v_cndmask_b32 v12, -1, v12, s[56:57]               // LDD clip if OOB. offset
/* (d1,vc1,d0,vc0)=(0,0,0,2) */
_v_add_co_u32 v4, vcc, v0, 2                       // coord0.1: coord0 += d0*sg0*VW + vc0
v_cmp_lt_u32 s[52:53], v4, s[sgprSizeI]            // coord0 < size0
v_cmp_lt_u32 s[56:57], v1, s[sgprSizeJ]            // coord1 < size1
s_and_b64 s[56:57], s[52:53], s[56:57]             // in0 && in1
_v_add_lshl_u32 v14, v3, v4, 0x1                   // scaleToBpe: accumulate d0 lower and *= bpe into Cin addr
v_cndmask_b32 v14, -1, v14, s[56:57]               // LDD clip if OOB. offset
/* (d1,vc1,d0,vc0)=(0,0,0,3) */
_v_add_co_u32 v4, vcc, v0, 3                       // coord0.1: coord0 += d0*sg0*VW + vc0
v_cmp_lt_u32 s[52:53], v4, s[sgprSizeI]            // coord0 < size0
v_cmp_lt_u32 s[56:57], v1, s[sgprSizeJ]            // coord1 < size1
s_and_b64 s[56:57], s[52:53], s[56:57]             // in0 && in1
_v_add_lshl_u32 v16, v3, v4, 0x1                   // scaleToBpe: accumulate d0 lower and *= bpe into Cin addr
v_cndmask_b32 v16, -1, v16, s[56:57]               // LDD clip if OOB. offset
/* (d1,vc1,d0,vc0)=(0,1,0,0) */
_v_add_co_u32 v1, vcc, v1, 1                       // coord1.1: coord1Vgpr += d1*sg1*VW + vc1

/* Fix for UseInitialStridesCD, emitAddressSetupCode */
_v_add_u32 v2, v2, s[sgprStrideC1J]                // ROWINC- Move cinRowPtr to next row
_v_add_u32 v3, v3, s[sgprStrideD1J]                // Move coutRowPtr to next row
v_cmp_lt_u32 s[52:53], v0, s[sgprSizeI]            // coord0 < size0
v_cmp_lt_u32 s[56:57], v1, s[sgprSizeJ]            // coord1 < size1
s_and_b64 s[56:57], s[52:53], s[56:57]             // in0 && in1
_v_add_lshl_u32 v18, v3, v0, 0x1                   // scaleToBpe: accumulate d0 lower and *= bpe into Cin addr
v_cndmask_b32 v18, -1, v18, s[56:57]               // LDD clip if OOB. offset
/* (d1,vc1,d0,vc0)=(0,1,0,1) */
_v_add_co_u32 v4, vcc, v0, 1                       // coord0.1: coord0 += d0*sg0*VW + vc0
v_cmp_lt_u32 s[52:53], v4, s[sgprSizeI]            // coord0 < size0
v_cmp_lt_u32 s[56:57], v1, s[sgprSizeJ]            // coord1 < size1
s_and_b64 s[56:57], s[52:53], s[56:57]             // in0 && in1
_v_add_lshl_u32 v20, v3, v4, 0x1                   // scaleToBpe: accumulate d0 lower and *= bpe into Cin addr
v_cndmask_b32 v20, -1, v20, s[56:57]               // LDD clip if OOB. offset
/* (d1,vc1,d0,vc0)=(0,1,0,2) */
_v_add_co_u32 v4, vcc, v0, 2                       // coord0.1: coord0 += d0*sg0*VW + vc0
v_cmp_lt_u32 s[52:53], v4, s[sgprSizeI]            // coord0 < size0
v_cmp_lt_u32 s[56:57], v1, s[sgprSizeJ]            // coord1 < size1
s_and_b64 s[56:57], s[52:53], s[56:57]             // in0 && in1
_v_add_lshl_u32 v22, v3, v4, 0x1                   // scaleToBpe: accumulate d0 lower and *= bpe into Cin addr
v_cndmask_b32 v22, -1, v22, s[56:57]               // LDD clip if OOB. offset
/* (d1,vc1,d0,vc0)=(0,1,0,3) */
_v_add_co_u32 v4, vcc, v0, 3                       // coord0.1: coord0 += d0*sg0*VW + vc0
v_cmp_lt_u32 s[52:53], v4, s[sgprSizeI]            // coord0 < size0
v_cmp_lt_u32 s[56:57], v1, s[sgprSizeJ]            // coord1 < size1
s_and_b64 s[56:57], s[52:53], s[56:57]             // in0 && in1
_v_add_lshl_u32 v24, v3, v4, 0x1                   // scaleToBpe: accumulate d0 lower and *= bpe into Cin addr
v_cndmask_b32 v24, -1, v24, s[56:57]               // LDD clip if OOB. offset
/* (d1,vc1,d0,vc0)=(0,2,0,0) */
_v_add_co_u32 v1, vcc, v1, 1                       // coord1.1: coord1Vgpr += d1*sg1*VW + vc1

/* Fix for UseInitialStridesCD, emitAddressSetupCode */
_v_add_u32 v2, v2, s[sgprStrideC1J]                // ROWINC- Move cinRowPtr to next row
_v_add_u32 v3, v3, s[sgprStrideD1J]                // Move coutRowPtr to next row
	;; [unrolled: 32-line block ×7, first 2 shown]
v_cmp_lt_u32 s[52:53], v0, s[sgprSizeI]            // coord0 < size0
v_cmp_lt_u32 s[56:57], v1, s[sgprSizeJ]            // coord1 < size1
s_and_b64 s[56:57], s[52:53], s[56:57]             // in0 && in1
_v_add_lshl_u32 v66, v3, v0, 0x1                   // scaleToBpe: accumulate d0 lower and *= bpe into Cin addr
v_cndmask_b32 v66, -1, v66, s[56:57]               // LDD clip if OOB. offset
/* (d1,vc1,d0,vc0)=(0,7,0,1) */
_v_add_co_u32 v4, vcc, v0, 1                       // coord0.1: coord0 += d0*sg0*VW + vc0
v_cmp_lt_u32 s[52:53], v4, s[sgprSizeI]            // coord0 < size0
v_cmp_lt_u32 s[56:57], v1, s[sgprSizeJ]            // coord1 < size1
s_and_b64 s[56:57], s[52:53], s[56:57]             // in0 && in1
_v_add_lshl_u32 v68, v3, v4, 0x1                   // scaleToBpe: accumulate d0 lower and *= bpe into Cin addr
v_cndmask_b32 v68, -1, v68, s[56:57]               // LDD clip if OOB. offset
/* (d1,vc1,d0,vc0)=(0,7,0,2) */
_v_add_co_u32 v4, vcc, v0, 2                       // coord0.1: coord0 += d0*sg0*VW + vc0
	;; [unrolled: 7-line block ×3, first 2 shown]
v_cmp_lt_u32 s[52:53], v4, s[sgprSizeI]            // coord0 < size0
v_cmp_lt_u32 s[56:57], v1, s[sgprSizeJ]            // coord1 < size1
s_and_b64 s[56:57], s[52:53], s[56:57]             // in0 && in1
_v_add_lshl_u32 v72, v3, v4, 0x1                   // scaleToBpe: accumulate d0 lower and *= bpe into Cin addr
v_cndmask_b32 v72, -1, v72, s[56:57]               // LDD clip if OOB. offset
/* (d1,vc1,d0,vc0)=(1,0,0,0) */
_v_add_co_u32 v1, vcc, v1, 25                      // coord1.1: coord1Vgpr += d1*sg1*VW + vc1

/* Fix for UseInitialStridesCD, emitAddressSetupCode */
s_mul_i32 s52, s[sgprStrideC1J], 25                // scale stride
_v_add_u32 v2, v2, s52                             // ROWINC- Move cinRowPtr to next row
s_mul_i32 s52, s[sgprStrideD1J], 25                // scale stride
_v_add_u32 v3, v3, s52                             // Move coutRowPtr to next row
v_cmp_lt_u32 s[52:53], v0, s[sgprSizeI]            // coord0 < size0
v_cmp_lt_u32 s[56:57], v1, s[sgprSizeJ]            // coord1 < size1
s_and_b64 s[56:57], s[52:53], s[56:57]             // in0 && in1
_v_add_lshl_u32 v74, v3, v0, 0x1                   // scaleToBpe: accumulate d0 lower and *= bpe into Cin addr
v_cndmask_b32 v74, -1, v74, s[56:57]               // LDD clip if OOB. offset
/* (d1,vc1,d0,vc0)=(1,0,0,1) */
_v_add_co_u32 v4, vcc, v0, 1                       // coord0.1: coord0 += d0*sg0*VW + vc0
v_cmp_lt_u32 s[52:53], v4, s[sgprSizeI]            // coord0 < size0
v_cmp_lt_u32 s[56:57], v1, s[sgprSizeJ]            // coord1 < size1
s_and_b64 s[56:57], s[52:53], s[56:57]             // in0 && in1
_v_add_lshl_u32 v76, v3, v4, 0x1                   // scaleToBpe: accumulate d0 lower and *= bpe into Cin addr
v_cndmask_b32 v76, -1, v76, s[56:57]               // LDD clip if OOB. offset
/* (d1,vc1,d0,vc0)=(1,0,0,2) */
_v_add_co_u32 v4, vcc, v0, 2                       // coord0.1: coord0 += d0*sg0*VW + vc0
v_cmp_lt_u32 s[52:53], v4, s[sgprSizeI]            // coord0 < size0
v_cmp_lt_u32 s[56:57], v1, s[sgprSizeJ]            // coord1 < size1
s_and_b64 s[56:57], s[52:53], s[56:57]             // in0 && in1
_v_add_lshl_u32 v78, v3, v4, 0x1                   // scaleToBpe: accumulate d0 lower and *= bpe into Cin addr
v_cndmask_b32 v78, -1, v78, s[56:57]               // LDD clip if OOB. offset
/* (d1,vc1,d0,vc0)=(1,0,0,3) */
_v_add_co_u32 v4, vcc, v0, 3                       // coord0.1: coord0 += d0*sg0*VW + vc0
v_cmp_lt_u32 s[52:53], v4, s[sgprSizeI]            // coord0 < size0
v_cmp_lt_u32 s[56:57], v1, s[sgprSizeJ]            // coord1 < size1
s_and_b64 s[56:57], s[52:53], s[56:57]             // in0 && in1
_v_add_lshl_u32 v80, v3, v4, 0x1                   // scaleToBpe: accumulate d0 lower and *= bpe into Cin addr
v_cndmask_b32 v80, -1, v80, s[56:57]               // LDD clip if OOB. offset
/* (d1,vc1,d0,vc0)=(1,1,0,0) */
_v_add_co_u32 v1, vcc, v1, 1                       // coord1.1: coord1Vgpr += d1*sg1*VW + vc1

/* Fix for UseInitialStridesCD, emitAddressSetupCode */
_v_add_u32 v2, v2, s[sgprStrideC1J]                // ROWINC- Move cinRowPtr to next row
_v_add_u32 v3, v3, s[sgprStrideD1J]                // Move coutRowPtr to next row
v_cmp_lt_u32 s[52:53], v0, s[sgprSizeI]            // coord0 < size0
v_cmp_lt_u32 s[56:57], v1, s[sgprSizeJ]            // coord1 < size1
s_and_b64 s[56:57], s[52:53], s[56:57]             // in0 && in1
_v_add_lshl_u32 v82, v3, v0, 0x1                   // scaleToBpe: accumulate d0 lower and *= bpe into Cin addr
v_cndmask_b32 v82, -1, v82, s[56:57]               // LDD clip if OOB. offset
/* (d1,vc1,d0,vc0)=(1,1,0,1) */
_v_add_co_u32 v4, vcc, v0, 1                       // coord0.1: coord0 += d0*sg0*VW + vc0
v_cmp_lt_u32 s[52:53], v4, s[sgprSizeI]            // coord0 < size0
v_cmp_lt_u32 s[56:57], v1, s[sgprSizeJ]            // coord1 < size1
s_and_b64 s[56:57], s[52:53], s[56:57]             // in0 && in1
_v_add_lshl_u32 v84, v3, v4, 0x1                   // scaleToBpe: accumulate d0 lower and *= bpe into Cin addr
v_cndmask_b32 v84, -1, v84, s[56:57]               // LDD clip if OOB. offset
/* (d1,vc1,d0,vc0)=(1,1,0,2) */
_v_add_co_u32 v4, vcc, v0, 2                       // coord0.1: coord0 += d0*sg0*VW + vc0
v_cmp_lt_u32 s[52:53], v4, s[sgprSizeI]            // coord0 < size0
v_cmp_lt_u32 s[56:57], v1, s[sgprSizeJ]            // coord1 < size1
s_and_b64 s[56:57], s[52:53], s[56:57]             // in0 && in1
_v_add_lshl_u32 v86, v3, v4, 0x1                   // scaleToBpe: accumulate d0 lower and *= bpe into Cin addr
v_cndmask_b32 v86, -1, v86, s[56:57]               // LDD clip if OOB. offset
/* (d1,vc1,d0,vc0)=(1,1,0,3) */
_v_add_co_u32 v4, vcc, v0, 3                       // coord0.1: coord0 += d0*sg0*VW + vc0
v_cmp_lt_u32 s[52:53], v4, s[sgprSizeI]            // coord0 < size0
v_cmp_lt_u32 s[56:57], v1, s[sgprSizeJ]            // coord1 < size1
s_and_b64 s[56:57], s[52:53], s[56:57]             // in0 && in1
_v_add_lshl_u32 v88, v3, v4, 0x1                   // scaleToBpe: accumulate d0 lower and *= bpe into Cin addr
v_cndmask_b32 v88, -1, v88, s[56:57]               // LDD clip if OOB. offset
/* (d1,vc1,d0,vc0)=(1,2,0,0) */
_v_add_co_u32 v1, vcc, v1, 1                       // coord1.1: coord1Vgpr += d1*sg1*VW + vc1

/* Fix for UseInitialStridesCD, emitAddressSetupCode */
_v_add_u32 v2, v2, s[sgprStrideC1J]                // ROWINC- Move cinRowPtr to next row
_v_add_u32 v3, v3, s[sgprStrideD1J]                // Move coutRowPtr to next row
	;; [unrolled: 32-line block ×3, first 2 shown]
v_cmp_lt_u32 s[52:53], v0, s[sgprSizeI]            // coord0 < size0
v_cmp_lt_u32 s[56:57], v1, s[sgprSizeJ]            // coord1 < size1
s_and_b64 s[56:57], s[52:53], s[56:57]             // in0 && in1
_v_add_lshl_u32 v98, v3, v0, 0x1                   // scaleToBpe: accumulate d0 lower and *= bpe into Cin addr
v_cndmask_b32 v98, -1, v98, s[56:57]               // LDD clip if OOB. offset
/* (d1,vc1,d0,vc0)=(1,3,0,1) */
_v_add_co_u32 v4, vcc, v0, 1                       // coord0.1: coord0 += d0*sg0*VW + vc0
v_cmp_lt_u32 s[52:53], v4, s[sgprSizeI]            // coord0 < size0
v_cmp_lt_u32 s[56:57], v1, s[sgprSizeJ]            // coord1 < size1
s_and_b64 s[56:57], s[52:53], s[56:57]             // in0 && in1
_v_add_lshl_u32 v100, v3, v4, 0x1                  // scaleToBpe: accumulate d0 lower and *= bpe into Cin addr
v_cndmask_b32 v100, -1, v100, s[56:57]             // LDD clip if OOB. offset
/* (d1,vc1,d0,vc0)=(1,3,0,2) */
_v_add_co_u32 v4, vcc, v0, 2                       // coord0.1: coord0 += d0*sg0*VW + vc0
v_cmp_lt_u32 s[52:53], v4, s[sgprSizeI]            // coord0 < size0
v_cmp_lt_u32 s[56:57], v1, s[sgprSizeJ]            // coord1 < size1
s_and_b64 s[56:57], s[52:53], s[56:57]             // in0 && in1
_v_add_lshl_u32 v102, v3, v4, 0x1                  // scaleToBpe: accumulate d0 lower and *= bpe into Cin addr
v_cndmask_b32 v102, -1, v102, s[56:57]             // LDD clip if OOB. offset
/* (d1,vc1,d0,vc0)=(1,3,0,3) */
_v_add_co_u32 v4, vcc, v0, 3                       // coord0.1: coord0 += d0*sg0*VW + vc0
v_cmp_lt_u32 s[52:53], v4, s[sgprSizeI]            // coord0 < size0
v_cmp_lt_u32 s[56:57], v1, s[sgprSizeJ]            // coord1 < size1
s_and_b64 s[56:57], s[52:53], s[56:57]             // in0 && in1
_v_add_lshl_u32 v104, v3, v4, 0x1                  // scaleToBpe: accumulate d0 lower and *= bpe into Cin addr
v_cndmask_b32 v104, -1, v104, s[56:57]             // LDD clip if OOB. offset
/* (d1,vc1,d0,vc0)=(1,4,0,0) */
_v_add_co_u32 v1, vcc, v1, 1                       // coord1.1: coord1Vgpr += d1*sg1*VW + vc1

/* Fix for UseInitialStridesCD, emitAddressSetupCode */
_v_add_u32 v2, v2, s[sgprStrideC1J]                // ROWINC- Move cinRowPtr to next row
_v_add_u32 v3, v3, s[sgprStrideD1J]                // Move coutRowPtr to next row
v_cmp_lt_u32 s[52:53], v0, s[sgprSizeI]            // coord0 < size0
v_cmp_lt_u32 s[56:57], v1, s[sgprSizeJ]            // coord1 < size1
s_and_b64 s[56:57], s[52:53], s[56:57]             // in0 && in1
_v_add_lshl_u32 v106, v3, v0, 0x1                  // scaleToBpe: accumulate d0 lower and *= bpe into Cin addr
v_cndmask_b32 v106, -1, v106, s[56:57]             // LDD clip if OOB. offset
/* (d1,vc1,d0,vc0)=(1,4,0,1) */
_v_add_co_u32 v4, vcc, v0, 1                       // coord0.1: coord0 += d0*sg0*VW + vc0
v_cmp_lt_u32 s[52:53], v4, s[sgprSizeI]            // coord0 < size0
v_cmp_lt_u32 s[56:57], v1, s[sgprSizeJ]            // coord1 < size1
s_and_b64 s[56:57], s[52:53], s[56:57]             // in0 && in1
_v_add_lshl_u32 v108, v3, v4, 0x1                  // scaleToBpe: accumulate d0 lower and *= bpe into Cin addr
v_cndmask_b32 v108, -1, v108, s[56:57]             // LDD clip if OOB. offset
/* (d1,vc1,d0,vc0)=(1,4,0,2) */
_v_add_co_u32 v4, vcc, v0, 2                       // coord0.1: coord0 += d0*sg0*VW + vc0
v_cmp_lt_u32 s[52:53], v4, s[sgprSizeI]            // coord0 < size0
v_cmp_lt_u32 s[56:57], v1, s[sgprSizeJ]            // coord1 < size1
s_and_b64 s[56:57], s[52:53], s[56:57]             // in0 && in1
_v_add_lshl_u32 v110, v3, v4, 0x1                  // scaleToBpe: accumulate d0 lower and *= bpe into Cin addr
v_cndmask_b32 v110, -1, v110, s[56:57]             // LDD clip if OOB. offset
/* (d1,vc1,d0,vc0)=(1,4,0,3) */
_v_add_co_u32 v4, vcc, v0, 3                       // coord0.1: coord0 += d0*sg0*VW + vc0
v_cmp_lt_u32 s[52:53], v4, s[sgprSizeI]            // coord0 < size0
v_cmp_lt_u32 s[56:57], v1, s[sgprSizeJ]            // coord1 < size1
s_and_b64 s[56:57], s[52:53], s[56:57]             // in0 && in1
_v_add_lshl_u32 v112, v3, v4, 0x1                  // scaleToBpe: accumulate d0 lower and *= bpe into Cin addr
v_cndmask_b32 v112, -1, v112, s[56:57]             // LDD clip if OOB. offset
/* (d1,vc1,d0,vc0)=(1,5,0,0) */
_v_add_co_u32 v1, vcc, v1, 1                       // coord1.1: coord1Vgpr += d1*sg1*VW + vc1

/* Fix for UseInitialStridesCD, emitAddressSetupCode */
_v_add_u32 v2, v2, s[sgprStrideC1J]                // ROWINC- Move cinRowPtr to next row
_v_add_u32 v3, v3, s[sgprStrideD1J]                // Move coutRowPtr to next row
v_cmp_lt_u32 s[52:53], v0, s[sgprSizeI]            // coord0 < size0
v_cmp_lt_u32 s[56:57], v1, s[sgprSizeJ]            // coord1 < size1
s_and_b64 s[56:57], s[52:53], s[56:57]             // in0 && in1
_v_add_lshl_u32 v114, v3, v0, 0x1                  // scaleToBpe: accumulate d0 lower and *= bpe into Cin addr
v_cndmask_b32 v114, -1, v114, s[56:57]             // LDD clip if OOB. offset
	;; [unrolled: 32-line block ×4, first 2 shown]
/* (d1,vc1,d0,vc0)=(1,7,0,1) */
_v_add_co_u32 v4, vcc, v0, 1                       // coord0.1: coord0 += d0*sg0*VW + vc0
v_cmp_lt_u32 s[52:53], v4, s[sgprSizeI]            // coord0 < size0
v_cmp_lt_u32 s[56:57], v1, s[sgprSizeJ]            // coord1 < size1
s_and_b64 s[56:57], s[52:53], s[56:57]             // in0 && in1
_v_add_lshl_u32 v132, v3, v4, 0x1                  // scaleToBpe: accumulate d0 lower and *= bpe into Cin addr
v_cndmask_b32 v132, -1, v132, s[56:57]             // LDD clip if OOB. offset
/* (d1,vc1,d0,vc0)=(1,7,0,2) */
_v_add_co_u32 v4, vcc, v0, 2                       // coord0.1: coord0 += d0*sg0*VW + vc0
v_cmp_lt_u32 s[52:53], v4, s[sgprSizeI]            // coord0 < size0
v_cmp_lt_u32 s[56:57], v1, s[sgprSizeJ]            // coord1 < size1
s_and_b64 s[56:57], s[52:53], s[56:57]             // in0 && in1
_v_add_lshl_u32 v134, v3, v4, 0x1                  // scaleToBpe: accumulate d0 lower and *= bpe into Cin addr
v_cndmask_b32 v134, -1, v134, s[56:57]             // LDD clip if OOB. offset
	;; [unrolled: 7-line block ×3, first 2 shown]
/* (d1,vc1,d0,vc0)=(2,0,0,0) */
_v_add_co_u32 v1, vcc, v1, 25                      // coord1.1: coord1Vgpr += d1*sg1*VW + vc1

/* Fix for UseInitialStridesCD, emitAddressSetupCode */
s_mul_i32 s52, s[sgprStrideC1J], 25                // scale stride
_v_add_u32 v2, v2, s52                             // ROWINC- Move cinRowPtr to next row
s_mul_i32 s52, s[sgprStrideD1J], 25                // scale stride
_v_add_u32 v3, v3, s52                             // Move coutRowPtr to next row
v_cmp_lt_u32 s[52:53], v0, s[sgprSizeI]            // coord0 < size0
v_cmp_lt_u32 s[56:57], v1, s[sgprSizeJ]            // coord1 < size1
s_and_b64 s[56:57], s[52:53], s[56:57]             // in0 && in1
_v_add_lshl_u32 v138, v3, v0, 0x1                  // scaleToBpe: accumulate d0 lower and *= bpe into Cin addr
v_cndmask_b32 v138, -1, v138, s[56:57]             // LDD clip if OOB. offset
/* (d1,vc1,d0,vc0)=(2,0,0,1) */
_v_add_co_u32 v4, vcc, v0, 1                       // coord0.1: coord0 += d0*sg0*VW + vc0
v_cmp_lt_u32 s[52:53], v4, s[sgprSizeI]            // coord0 < size0
v_cmp_lt_u32 s[56:57], v1, s[sgprSizeJ]            // coord1 < size1
s_and_b64 s[56:57], s[52:53], s[56:57]             // in0 && in1
_v_add_lshl_u32 v140, v3, v4, 0x1                  // scaleToBpe: accumulate d0 lower and *= bpe into Cin addr
v_cndmask_b32 v140, -1, v140, s[56:57]             // LDD clip if OOB. offset
/* (d1,vc1,d0,vc0)=(2,0,0,2) */
_v_add_co_u32 v4, vcc, v0, 2                       // coord0.1: coord0 += d0*sg0*VW + vc0
v_cmp_lt_u32 s[52:53], v4, s[sgprSizeI]            // coord0 < size0
v_cmp_lt_u32 s[56:57], v1, s[sgprSizeJ]            // coord1 < size1
s_and_b64 s[56:57], s[52:53], s[56:57]             // in0 && in1
_v_add_lshl_u32 v142, v3, v4, 0x1                  // scaleToBpe: accumulate d0 lower and *= bpe into Cin addr
v_cndmask_b32 v142, -1, v142, s[56:57]             // LDD clip if OOB. offset
/* (d1,vc1,d0,vc0)=(2,0,0,3) */
_v_add_co_u32 v4, vcc, v0, 3                       // coord0.1: coord0 += d0*sg0*VW + vc0
v_cmp_lt_u32 s[52:53], v4, s[sgprSizeI]            // coord0 < size0
v_cmp_lt_u32 s[56:57], v1, s[sgprSizeJ]            // coord1 < size1
s_and_b64 s[56:57], s[52:53], s[56:57]             // in0 && in1
_v_add_lshl_u32 v144, v3, v4, 0x1                  // scaleToBpe: accumulate d0 lower and *= bpe into Cin addr
v_cndmask_b32 v144, -1, v144, s[56:57]             // LDD clip if OOB. offset
/* (d1,vc1,d0,vc0)=(2,1,0,0) */
_v_add_co_u32 v1, vcc, v1, 1                       // coord1.1: coord1Vgpr += d1*sg1*VW + vc1

/* Fix for UseInitialStridesCD, emitAddressSetupCode */
_v_add_u32 v2, v2, s[sgprStrideC1J]                // ROWINC- Move cinRowPtr to next row
_v_add_u32 v3, v3, s[sgprStrideD1J]                // Move coutRowPtr to next row
v_cmp_lt_u32 s[52:53], v0, s[sgprSizeI]            // coord0 < size0
v_cmp_lt_u32 s[56:57], v1, s[sgprSizeJ]            // coord1 < size1
s_and_b64 s[56:57], s[52:53], s[56:57]             // in0 && in1
_v_add_lshl_u32 v146, v3, v0, 0x1                  // scaleToBpe: accumulate d0 lower and *= bpe into Cin addr
v_cndmask_b32 v146, -1, v146, s[56:57]             // LDD clip if OOB. offset
/* (d1,vc1,d0,vc0)=(2,1,0,1) */
_v_add_co_u32 v4, vcc, v0, 1                       // coord0.1: coord0 += d0*sg0*VW + vc0
v_cmp_lt_u32 s[52:53], v4, s[sgprSizeI]            // coord0 < size0
v_cmp_lt_u32 s[56:57], v1, s[sgprSizeJ]            // coord1 < size1
s_and_b64 s[56:57], s[52:53], s[56:57]             // in0 && in1
_v_add_lshl_u32 v148, v3, v4, 0x1                  // scaleToBpe: accumulate d0 lower and *= bpe into Cin addr
v_cndmask_b32 v148, -1, v148, s[56:57]             // LDD clip if OOB. offset
/* (d1,vc1,d0,vc0)=(2,1,0,2) */
_v_add_co_u32 v4, vcc, v0, 2                       // coord0.1: coord0 += d0*sg0*VW + vc0
v_cmp_lt_u32 s[52:53], v4, s[sgprSizeI]            // coord0 < size0
v_cmp_lt_u32 s[56:57], v1, s[sgprSizeJ]            // coord1 < size1
s_and_b64 s[56:57], s[52:53], s[56:57]             // in0 && in1
_v_add_lshl_u32 v150, v3, v4, 0x1                  // scaleToBpe: accumulate d0 lower and *= bpe into Cin addr
v_cndmask_b32 v150, -1, v150, s[56:57]             // LDD clip if OOB. offset
/* (d1,vc1,d0,vc0)=(2,1,0,3) */
_v_add_co_u32 v4, vcc, v0, 3                       // coord0.1: coord0 += d0*sg0*VW + vc0
v_cmp_lt_u32 s[52:53], v4, s[sgprSizeI]            // coord0 < size0
v_cmp_lt_u32 s[56:57], v1, s[sgprSizeJ]            // coord1 < size1
s_and_b64 s[56:57], s[52:53], s[56:57]             // in0 && in1
_v_add_lshl_u32 v152, v3, v4, 0x1                  // scaleToBpe: accumulate d0 lower and *= bpe into Cin addr
v_cndmask_b32 v152, -1, v152, s[56:57]             // LDD clip if OOB. offset
/* (d1,vc1,d0,vc0)=(2,2,0,0) */
_v_add_co_u32 v1, vcc, v1, 1                       // coord1.1: coord1Vgpr += d1*sg1*VW + vc1

/* Fix for UseInitialStridesCD, emitAddressSetupCode */
_v_add_u32 v2, v2, s[sgprStrideC1J]                // ROWINC- Move cinRowPtr to next row
_v_add_u32 v3, v3, s[sgprStrideD1J]                // Move coutRowPtr to next row
	;; [unrolled: 32-line block ×7, first 2 shown]
v_cmp_lt_u32 s[52:53], v0, s[sgprSizeI]            // coord0 < size0
v_cmp_lt_u32 s[56:57], v1, s[sgprSizeJ]            // coord1 < size1
s_and_b64 s[56:57], s[52:53], s[56:57]             // in0 && in1
_v_add_lshl_u32 v194, v3, v0, 0x1                  // scaleToBpe: accumulate d0 lower and *= bpe into Cin addr
v_cndmask_b32 v194, -1, v194, s[56:57]             // LDD clip if OOB. offset
/* (d1,vc1,d0,vc0)=(2,7,0,1) */
_v_add_co_u32 v4, vcc, v0, 1                       // coord0.1: coord0 += d0*sg0*VW + vc0
v_cmp_lt_u32 s[52:53], v4, s[sgprSizeI]            // coord0 < size0
v_cmp_lt_u32 s[56:57], v1, s[sgprSizeJ]            // coord1 < size1
s_and_b64 s[56:57], s[52:53], s[56:57]             // in0 && in1
_v_add_lshl_u32 v196, v3, v4, 0x1                  // scaleToBpe: accumulate d0 lower and *= bpe into Cin addr
v_cndmask_b32 v196, -1, v196, s[56:57]             // LDD clip if OOB. offset
/* (d1,vc1,d0,vc0)=(2,7,0,2) */
_v_add_co_u32 v4, vcc, v0, 2                       // coord0.1: coord0 += d0*sg0*VW + vc0
	;; [unrolled: 7-line block ×3, first 2 shown]
v_cmp_lt_u32 s[52:53], v4, s[sgprSizeI]            // coord0 < size0
v_cmp_lt_u32 s[56:57], v1, s[sgprSizeJ]            // coord1 < size1
s_and_b64 s[56:57], s[52:53], s[56:57]             // in0 && in1
_v_add_lshl_u32 v200, v3, v4, 0x1                  // scaleToBpe: accumulate d0 lower and *= bpe into Cin addr
v_cndmask_b32 v200, -1, v200, s[56:57]             // LDD clip if OOB. offset
/* (d1,vc1,d0,vc0)=(3,0,0,0) */
_v_add_co_u32 v1, vcc, v1, 25                      // coord1.1: coord1Vgpr += d1*sg1*VW + vc1

/* Fix for UseInitialStridesCD, emitAddressSetupCode */
s_mul_i32 s52, s[sgprStrideC1J], 25                // scale stride
_v_add_u32 v2, v2, s52                             // ROWINC- Move cinRowPtr to next row
s_mul_i32 s52, s[sgprStrideD1J], 25                // scale stride
_v_add_u32 v3, v3, s52                             // Move coutRowPtr to next row
v_cmp_lt_u32 s[52:53], v0, s[sgprSizeI]            // coord0 < size0
v_cmp_lt_u32 s[56:57], v1, s[sgprSizeJ]            // coord1 < size1
s_and_b64 s[56:57], s[52:53], s[56:57]             // in0 && in1
_v_add_lshl_u32 v202, v3, v0, 0x1                  // scaleToBpe: accumulate d0 lower and *= bpe into Cin addr
v_cndmask_b32 v202, -1, v202, s[56:57]             // LDD clip if OOB. offset
/* (d1,vc1,d0,vc0)=(3,0,0,1) */
_v_add_co_u32 v4, vcc, v0, 1                       // coord0.1: coord0 += d0*sg0*VW + vc0
v_cmp_lt_u32 s[52:53], v4, s[sgprSizeI]            // coord0 < size0
v_cmp_lt_u32 s[56:57], v1, s[sgprSizeJ]            // coord1 < size1
s_and_b64 s[56:57], s[52:53], s[56:57]             // in0 && in1
_v_add_lshl_u32 v204, v3, v4, 0x1                  // scaleToBpe: accumulate d0 lower and *= bpe into Cin addr
v_cndmask_b32 v204, -1, v204, s[56:57]             // LDD clip if OOB. offset
/* (d1,vc1,d0,vc0)=(3,0,0,2) */
_v_add_co_u32 v4, vcc, v0, 2                       // coord0.1: coord0 += d0*sg0*VW + vc0
v_cmp_lt_u32 s[52:53], v4, s[sgprSizeI]            // coord0 < size0
v_cmp_lt_u32 s[56:57], v1, s[sgprSizeJ]            // coord1 < size1
s_and_b64 s[56:57], s[52:53], s[56:57]             // in0 && in1
_v_add_lshl_u32 v206, v3, v4, 0x1                  // scaleToBpe: accumulate d0 lower and *= bpe into Cin addr
v_cndmask_b32 v206, -1, v206, s[56:57]             // LDD clip if OOB. offset
/* (d1,vc1,d0,vc0)=(3,0,0,3) */
_v_add_co_u32 v4, vcc, v0, 3                       // coord0.1: coord0 += d0*sg0*VW + vc0
v_cmp_lt_u32 s[52:53], v4, s[sgprSizeI]            // coord0 < size0
v_cmp_lt_u32 s[56:57], v1, s[sgprSizeJ]            // coord1 < size1
s_and_b64 s[56:57], s[52:53], s[56:57]             // in0 && in1
_v_add_lshl_u32 v208, v3, v4, 0x1                  // scaleToBpe: accumulate d0 lower and *= bpe into Cin addr
v_cndmask_b32 v208, -1, v208, s[56:57]             // LDD clip if OOB. offset
/* (d1,vc1,d0,vc0)=(3,1,0,0) */
_v_add_co_u32 v1, vcc, v1, 1                       // coord1.1: coord1Vgpr += d1*sg1*VW + vc1

/* Fix for UseInitialStridesCD, emitAddressSetupCode */
_v_add_u32 v2, v2, s[sgprStrideC1J]                // ROWINC- Move cinRowPtr to next row
_v_add_u32 v3, v3, s[sgprStrideD1J]                // Move coutRowPtr to next row
v_cmp_lt_u32 s[52:53], v0, s[sgprSizeI]            // coord0 < size0
v_cmp_lt_u32 s[56:57], v1, s[sgprSizeJ]            // coord1 < size1
s_and_b64 s[56:57], s[52:53], s[56:57]             // in0 && in1
_v_add_lshl_u32 v210, v3, v0, 0x1                  // scaleToBpe: accumulate d0 lower and *= bpe into Cin addr
v_cndmask_b32 v210, -1, v210, s[56:57]             // LDD clip if OOB. offset
/* (d1,vc1,d0,vc0)=(3,1,0,1) */
_v_add_co_u32 v4, vcc, v0, 1                       // coord0.1: coord0 += d0*sg0*VW + vc0
v_cmp_lt_u32 s[52:53], v4, s[sgprSizeI]            // coord0 < size0
v_cmp_lt_u32 s[56:57], v1, s[sgprSizeJ]            // coord1 < size1
s_and_b64 s[56:57], s[52:53], s[56:57]             // in0 && in1
_v_add_lshl_u32 v212, v3, v4, 0x1                  // scaleToBpe: accumulate d0 lower and *= bpe into Cin addr
v_cndmask_b32 v212, -1, v212, s[56:57]             // LDD clip if OOB. offset
/* (d1,vc1,d0,vc0)=(3,1,0,2) */
_v_add_co_u32 v4, vcc, v0, 2                       // coord0.1: coord0 += d0*sg0*VW + vc0
v_cmp_lt_u32 s[52:53], v4, s[sgprSizeI]            // coord0 < size0
v_cmp_lt_u32 s[56:57], v1, s[sgprSizeJ]            // coord1 < size1
s_and_b64 s[56:57], s[52:53], s[56:57]             // in0 && in1
_v_add_lshl_u32 v214, v3, v4, 0x1                  // scaleToBpe: accumulate d0 lower and *= bpe into Cin addr
v_cndmask_b32 v214, -1, v214, s[56:57]             // LDD clip if OOB. offset
/* (d1,vc1,d0,vc0)=(3,1,0,3) */
_v_add_co_u32 v4, vcc, v0, 3                       // coord0.1: coord0 += d0*sg0*VW + vc0
v_cmp_lt_u32 s[52:53], v4, s[sgprSizeI]            // coord0 < size0
v_cmp_lt_u32 s[56:57], v1, s[sgprSizeJ]            // coord1 < size1
s_and_b64 s[56:57], s[52:53], s[56:57]             // in0 && in1
_v_add_lshl_u32 v216, v3, v4, 0x1                  // scaleToBpe: accumulate d0 lower and *= bpe into Cin addr
v_cndmask_b32 v216, -1, v216, s[56:57]             // LDD clip if OOB. offset
/* (d1,vc1,d0,vc0)=(3,2,0,0) */
_v_add_co_u32 v1, vcc, v1, 1                       // coord1.1: coord1Vgpr += d1*sg1*VW + vc1

/* Fix for UseInitialStridesCD, emitAddressSetupCode */
_v_add_u32 v2, v2, s[sgprStrideC1J]                // ROWINC- Move cinRowPtr to next row
_v_add_u32 v3, v3, s[sgprStrideD1J]                // Move coutRowPtr to next row
	;; [unrolled: 32-line block ×6, first 2 shown]
v_cmp_lt_u32 s[52:53], v0, s[sgprSizeI]            // coord0 < size0
v_cmp_lt_u32 s[56:57], v1, s[sgprSizeJ]            // coord1 < size1
s_and_b64 s[56:57], s[52:53], s[56:57]             // in0 && in1
_v_add_lshl_u32 v252, v3, v0, 0x1                  // scaleToBpe: accumulate d0 lower and *= bpe into Cin addr
v_cndmask_b32 v252, -1, v252, s[56:57]             // LDD clip if OOB. offset
/* (d1,vc1,d0,vc0)=(3,6,0,1) */
_v_add_co_u32 v4, vcc, v0, 1                       // coord0.1: coord0 += d0*sg0*VW + vc0
v_cmp_lt_u32 s[52:53], v4, s[sgprSizeI]            // coord0 < size0
v_cmp_lt_u32 s[56:57], v1, s[sgprSizeJ]            // coord1 < size1
s_and_b64 s[56:57], s[52:53], s[56:57]             // in0 && in1
_v_add_lshl_u32 v254, v3, v4, 0x1                  // scaleToBpe: accumulate d0 lower and *= bpe into Cin addr
v_cndmask_b32 v254, -1, v254, s[56:57]             // LDD clip if OOB. offset
v_accvgpr_read_b32 v[vgprValuC+11], acc0 // copy acc to vreg[0]
v_accvgpr_read_b32 v[vgprValuC+13], acc4 // copy acc to vreg[1]
v_accvgpr_read_b32 v[vgprValuC+15], acc8 // copy acc to vreg[2]
v_accvgpr_read_b32 v[vgprValuC+17], acc12 // copy acc to vreg[3]
v_accvgpr_read_b32 v[vgprValuC+19], acc16 // copy acc to vreg[4]
v_accvgpr_read_b32 v[vgprValuC+21], acc20 // copy acc to vreg[5]
v_accvgpr_read_b32 v[vgprValuC+23], acc24 // copy acc to vreg[6]
v_accvgpr_read_b32 v[vgprValuC+25], acc28 // copy acc to vreg[7]
v_accvgpr_read_b32 v[vgprValuC+27], acc1 // copy acc to vreg[8]
v_accvgpr_read_b32 v[vgprValuC+29], acc5 // copy acc to vreg[9]
v_accvgpr_read_b32 v[vgprValuC+31], acc9 // copy acc to vreg[10]
v_accvgpr_read_b32 v[vgprValuC+33], acc13 // copy acc to vreg[11]
v_accvgpr_read_b32 v[vgprValuC+35], acc17 // copy acc to vreg[12]
v_accvgpr_read_b32 v[vgprValuC+37], acc21 // copy acc to vreg[13]
v_accvgpr_read_b32 v[vgprValuC+39], acc25 // copy acc to vreg[14]
v_accvgpr_read_b32 v[vgprValuC+41], acc29 // copy acc to vreg[15]
v_accvgpr_read_b32 v[vgprValuC+43], acc2 // copy acc to vreg[16]
v_accvgpr_read_b32 v[vgprValuC+45], acc6 // copy acc to vreg[17]
v_accvgpr_read_b32 v[vgprValuC+47], acc10 // copy acc to vreg[18]
v_accvgpr_read_b32 v[vgprValuC+49], acc14 // copy acc to vreg[19]
v_accvgpr_read_b32 v[vgprValuC+51], acc18 // copy acc to vreg[20]
v_accvgpr_read_b32 v[vgprValuC+53], acc22 // copy acc to vreg[21]
v_accvgpr_read_b32 v[vgprValuC+55], acc26 // copy acc to vreg[22]
v_accvgpr_read_b32 v[vgprValuC+57], acc30 // copy acc to vreg[23]
v_accvgpr_read_b32 v[vgprValuC+59], acc3 // copy acc to vreg[24]
v_accvgpr_read_b32 v[vgprValuC+61], acc7 // copy acc to vreg[25]
v_accvgpr_read_b32 v[vgprValuC+63], acc11 // copy acc to vreg[26]
v_accvgpr_read_b32 v[vgprValuC+65], acc15 // copy acc to vreg[27]
v_accvgpr_read_b32 v[vgprValuC+67], acc19 // copy acc to vreg[28]
v_accvgpr_read_b32 v[vgprValuC+69], acc23 // copy acc to vreg[29]
v_accvgpr_read_b32 v[vgprValuC+71], acc27 // copy acc to vreg[30]
v_accvgpr_read_b32 v[vgprValuC+73], acc31 // copy acc to vreg[31]
v_accvgpr_read_b32 v[vgprValuC+75], acc32 // copy acc to vreg[32]
v_accvgpr_read_b32 v[vgprValuC+77], acc36 // copy acc to vreg[33]
v_accvgpr_read_b32 v[vgprValuC+79], acc40 // copy acc to vreg[34]
v_accvgpr_read_b32 v[vgprValuC+81], acc44 // copy acc to vreg[35]
v_accvgpr_read_b32 v[vgprValuC+83], acc48 // copy acc to vreg[36]
v_accvgpr_read_b32 v[vgprValuC+85], acc52 // copy acc to vreg[37]
v_accvgpr_read_b32 v[vgprValuC+87], acc56 // copy acc to vreg[38]
v_accvgpr_read_b32 v[vgprValuC+89], acc60 // copy acc to vreg[39]
v_accvgpr_read_b32 v[vgprValuC+91], acc33 // copy acc to vreg[40]
v_accvgpr_read_b32 v[vgprValuC+93], acc37 // copy acc to vreg[41]
v_accvgpr_read_b32 v[vgprValuC+95], acc41 // copy acc to vreg[42]
v_accvgpr_read_b32 v[vgprValuC+97], acc45 // copy acc to vreg[43]
v_accvgpr_read_b32 v[vgprValuC+99], acc49 // copy acc to vreg[44]
v_accvgpr_read_b32 v[vgprValuC+101], acc53 // copy acc to vreg[45]
v_accvgpr_read_b32 v[vgprValuC+103], acc57 // copy acc to vreg[46]
v_accvgpr_read_b32 v[vgprValuC+105], acc61 // copy acc to vreg[47]
v_accvgpr_read_b32 v[vgprValuC+107], acc34 // copy acc to vreg[48]
v_accvgpr_read_b32 v[vgprValuC+109], acc38 // copy acc to vreg[49]
v_accvgpr_read_b32 v[vgprValuC+111], acc42 // copy acc to vreg[50]
v_accvgpr_read_b32 v[vgprValuC+113], acc46 // copy acc to vreg[51]
v_accvgpr_read_b32 v[vgprValuC+115], acc50 // copy acc to vreg[52]
v_accvgpr_read_b32 v[vgprValuC+117], acc54 // copy acc to vreg[53]
v_accvgpr_read_b32 v[vgprValuC+119], acc58 // copy acc to vreg[54]
v_accvgpr_read_b32 v[vgprValuC+121], acc62 // copy acc to vreg[55]
v_accvgpr_read_b32 v[vgprValuC+123], acc35 // copy acc to vreg[56]
v_accvgpr_read_b32 v[vgprValuC+125], acc39 // copy acc to vreg[57]
v_accvgpr_read_b32 v[vgprValuC+127], acc43 // copy acc to vreg[58]
v_accvgpr_read_b32 v[vgprValuC+129], acc47 // copy acc to vreg[59]
v_accvgpr_read_b32 v[vgprValuC+131], acc51 // copy acc to vreg[60]
v_accvgpr_read_b32 v[vgprValuC+133], acc55 // copy acc to vreg[61]
v_accvgpr_read_b32 v[vgprValuC+135], acc59 // copy acc to vreg[62]
v_accvgpr_read_b32 v[vgprValuC+137], acc63 // copy acc to vreg[63]
v_accvgpr_read_b32 v[vgprValuC+139], acc64 // copy acc to vreg[64]
v_accvgpr_read_b32 v[vgprValuC+141], acc68 // copy acc to vreg[65]
v_accvgpr_read_b32 v[vgprValuC+143], acc72 // copy acc to vreg[66]
v_accvgpr_read_b32 v[vgprValuC+145], acc76 // copy acc to vreg[67]
v_accvgpr_read_b32 v[vgprValuC+147], acc80 // copy acc to vreg[68]
v_accvgpr_read_b32 v[vgprValuC+149], acc84 // copy acc to vreg[69]
v_accvgpr_read_b32 v[vgprValuC+151], acc88 // copy acc to vreg[70]
v_accvgpr_read_b32 v[vgprValuC+153], acc92 // copy acc to vreg[71]
v_accvgpr_read_b32 v[vgprValuC+155], acc65 // copy acc to vreg[72]
v_accvgpr_read_b32 v[vgprValuC+157], acc69 // copy acc to vreg[73]
v_accvgpr_read_b32 v[vgprValuC+159], acc73 // copy acc to vreg[74]
v_accvgpr_read_b32 v[vgprValuC+161], acc77 // copy acc to vreg[75]
v_accvgpr_read_b32 v[vgprValuC+163], acc81 // copy acc to vreg[76]
v_accvgpr_read_b32 v[vgprValuC+165], acc85 // copy acc to vreg[77]
v_accvgpr_read_b32 v[vgprValuC+167], acc89 // copy acc to vreg[78]
v_accvgpr_read_b32 v[vgprValuC+169], acc93 // copy acc to vreg[79]
v_accvgpr_read_b32 v[vgprValuC+171], acc66 // copy acc to vreg[80]
v_accvgpr_read_b32 v[vgprValuC+173], acc70 // copy acc to vreg[81]
v_accvgpr_read_b32 v[vgprValuC+175], acc74 // copy acc to vreg[82]
v_accvgpr_read_b32 v[vgprValuC+177], acc78 // copy acc to vreg[83]
v_accvgpr_read_b32 v[vgprValuC+179], acc82 // copy acc to vreg[84]
v_accvgpr_read_b32 v[vgprValuC+181], acc86 // copy acc to vreg[85]
v_accvgpr_read_b32 v[vgprValuC+183], acc90 // copy acc to vreg[86]
v_accvgpr_read_b32 v[vgprValuC+185], acc94 // copy acc to vreg[87]
v_accvgpr_read_b32 v[vgprValuC+187], acc67 // copy acc to vreg[88]
v_accvgpr_read_b32 v[vgprValuC+189], acc71 // copy acc to vreg[89]
v_accvgpr_read_b32 v[vgprValuC+191], acc75 // copy acc to vreg[90]
v_accvgpr_read_b32 v[vgprValuC+193], acc79 // copy acc to vreg[91]
v_accvgpr_read_b32 v[vgprValuC+195], acc83 // copy acc to vreg[92]
v_accvgpr_read_b32 v[vgprValuC+197], acc87 // copy acc to vreg[93]
v_accvgpr_read_b32 v[vgprValuC+199], acc91 // copy acc to vreg[94]
v_accvgpr_read_b32 v[vgprValuC+201], acc95 // copy acc to vreg[95]
v_accvgpr_read_b32 v[vgprValuC+203], acc96 // copy acc to vreg[96]
v_accvgpr_read_b32 v[vgprValuC+205], acc100 // copy acc to vreg[97]
v_accvgpr_read_b32 v[vgprValuC+207], acc104 // copy acc to vreg[98]
v_accvgpr_read_b32 v[vgprValuC+209], acc108 // copy acc to vreg[99]
v_accvgpr_read_b32 v[vgprValuC+211], acc112 // copy acc to vreg[100]
v_accvgpr_read_b32 v[vgprValuC+213], acc116 // copy acc to vreg[101]
v_accvgpr_read_b32 v[vgprValuC+215], acc120 // copy acc to vreg[102]
v_accvgpr_read_b32 v[vgprValuC+217], acc124 // copy acc to vreg[103]
v_accvgpr_read_b32 v[vgprValuC+221], acc97 // copy acc to vreg[104]
v_accvgpr_read_b32 v[vgprValuC+223], acc101 // copy acc to vreg[105]
v_accvgpr_read_b32 v[vgprValuC+225], acc105 // copy acc to vreg[106]
v_accvgpr_read_b32 v[vgprValuC+227], acc109 // copy acc to vreg[107]
v_accvgpr_read_b32 v[vgprValuC+229], acc113 // copy acc to vreg[108]
v_accvgpr_read_b32 v[vgprValuC+231], acc117 // copy acc to vreg[109]
v_accvgpr_read_b32 v[vgprValuC+233], acc121 // copy acc to vreg[110]
v_accvgpr_read_b32 v[vgprValuC+235], acc125 // copy acc to vreg[111]
v_accvgpr_read_b32 v[vgprValuC+237], acc98 // copy acc to vreg[112]
v_accvgpr_read_b32 v[vgprValuC+239], acc102 // copy acc to vreg[113]
v_accvgpr_read_b32 v[vgprValuC+241], acc106 // copy acc to vreg[114]
v_accvgpr_read_b32 v[vgprValuC+243], acc110 // copy acc to vreg[115]
v_accvgpr_read_b32 v[vgprValuC+245], acc114 // copy acc to vreg[116]
v_accvgpr_read_b32 v[vgprValuC+247], acc118 // copy acc to vreg[117]
v_accvgpr_read_b32 v[vgprValuC+249], acc122 // copy acc to vreg[118]
v_accvgpr_read_b32 v[vgprValuC+251], acc126 // copy acc to vreg[119]
v_accvgpr_read_b32 v[vgprValuC+253], acc99 // copy acc to vreg[120]
v_accvgpr_read_b32 v[vgprValuC+255], acc103 // copy acc to vreg[121]
s_nop 1                                            // 2 wait states required before reading vgpr

/* rC *= alpha batchElements=[(0, 0, 0, 0), (0, 0, 0, 1), (0, 0, 0, 2), (0, 0, 0, 3), (0, 0, 1, 0), (0, 0, 1, 1), (0, 0, 1, 2), (0, 0, 1, 3), (0, 0, 2, 0), (0, 0, 2, 1), (0, 0, 2, 2), (0, 0, 2, 3), (0, 0, 3, 0), (0, 0, 3, 1), (0, 0, 3, 2), (0, 0, 3, 3), (0, 0, 4, 0), (0, 0, 4, 1), (0, 0, 4, 2), (0, 0, 4, 3), (0, 0, 5, 0), (0, 0, 5, 1), (0, 0, 5, 2), (0, 0, 5, 3), (0, 0, 6, 0), (0, 0, 6, 1), (0, 0, 6, 2), (0, 0, 6, 3), (0, 0, 7, 0), (0, 0, 7, 1), (0, 0, 7, 2), (0, 0, 7, 3), (1, 0, 0, 0), (1, 0, 0, 1), (1, 0, 0, 2), (1, 0, 0, 3), (1, 0, 1, 0), (1, 0, 1, 1), (1, 0, 1, 2), (1, 0, 1, 3), (1, 0, 2, 0), (1, 0, 2, 1), (1, 0, 2, 2), (1, 0, 2, 3), (1, 0, 3, 0), (1, 0, 3, 1), (1, 0, 3, 2), (1, 0, 3, 3), (1, 0, 4, 0), (1, 0, 4, 1), (1, 0, 4, 2), (1, 0, 4, 3), (1, 0, 5, 0), (1, 0, 5, 1), (1, 0, 5, 2), (1, 0, 5, 3), (1, 0, 6, 0), (1, 0, 6, 1), (1, 0, 6, 2), (1, 0, 6, 3), (1, 0, 7, 0), (1, 0, 7, 1), (1, 0, 7, 2), (1, 0, 7, 3), (2, 0, 0, 0), (2, 0, 0, 1), (2, 0, 0, 2), (2, 0, 0, 3), (2, 0, 1, 0), (2, 0, 1, 1), (2, 0, 1, 2), (2, 0, 1, 3), (2, 0, 2, 0), (2, 0, 2, 1), (2, 0, 2, 2), (2, 0, 2, 3), (2, 0, 3, 0), (2, 0, 3, 1), (2, 0, 3, 2), (2, 0, 3, 3), (2, 0, 4, 0), (2, 0, 4, 1), (2, 0, 4, 2), (2, 0, 4, 3), (2, 0, 5, 0), (2, 0, 5, 1), (2, 0, 5, 2), (2, 0, 5, 3), (2, 0, 6, 0), (2, 0, 6, 1), (2, 0, 6, 2), (2, 0, 6, 3), (2, 0, 7, 0), (2, 0, 7, 1), (2, 0, 7, 2), (2, 0, 7, 3), (3, 0, 0, 0), (3, 0, 0, 1), (3, 0, 0, 2), (3, 0, 0, 3), (3, 0, 1, 0), (3, 0, 1, 1), (3, 0, 1, 2), (3, 0, 1, 3), (3, 0, 2, 0), (3, 0, 2, 1), (3, 0, 2, 2), (3, 0, 2, 3), (3, 0, 3, 0), (3, 0, 3, 1), (3, 0, 3, 2), (3, 0, 3, 3), (3, 0, 4, 0), (3, 0, 4, 1), (3, 0, 4, 2), (3, 0, 4, 3), (3, 0, 5, 0), (3, 0, 5, 1), (3, 0, 5, 2), (3, 0, 5, 3), (3, 0, 6, 0), (3, 0, 6, 1)] */
v_mul_f32 v[vgprValuC+11], s[sgprAlpha], v[vgprValuC+11] // *= alpha
v_mul_f32 v[vgprValuC+13], s[sgprAlpha], v[vgprValuC+13] // *= alpha
	;; [unrolled: 1-line block ×122, first 2 shown]

/* apply mask, calc new C and issue writes */
v_mov_b32 v7, 0xffff0000                           // mask for pack two bfloat16 element to 32bit
v_mov_b32 v8, 0x7fff0000                           // fp32 Nan
v_mov_b32 v9, 0x7fff                               // rounding bias for bfloat16
v_cmp_u_f32 s[52:53], v[vgprValuC+11], v[vgprValuC+11] // check Nan
v_bfe_u32 v6, v[vgprValuC+11], 16, 1               // Non-Nan case: store lsb of bf16
v_add3_u32 v6, v[vgprValuC+11], v6, v9             // Non-Nan case: add lsb and the increment for rounding
v_cndmask_b32 v[vgprValuC+11], v6, v8, s[52:53]    // 
v_lshrrev_b32 v[vgprValuC+11], 16, v[vgprValuC+11] // convert C to bf16
_buffer_store_b16 v11, v10, s[sgprSrdD:sgprSrdD+3], 0, offen, offset:0,  sc0 sc1 // store D
v_cmp_u_f32 s[52:53], v[vgprValuC+13], v[vgprValuC+13] // check Nan
v_bfe_u32 v6, v[vgprValuC+13], 16, 1               // Non-Nan case: store lsb of bf16
v_add3_u32 v6, v[vgprValuC+13], v6, v9             // Non-Nan case: add lsb and the increment for rounding
v_cndmask_b32 v[vgprValuC+13], v6, v8, s[52:53]    // 
v_lshrrev_b32 v[vgprValuC+13], 16, v[vgprValuC+13] // convert C to bf16
_buffer_store_b16 v13, v12, s[sgprSrdD:sgprSrdD+3], 0, offen, offset:0,  sc0 sc1 // store D
	;; [unrolled: 6-line block ×45, first 2 shown]
v_cmp_u_f32 s[52:53], v[vgprValuC+101], v[vgprValuC+101] // check Nan
v_bfe_u32 v6, v[vgprValuC+101], 16, 1              // Non-Nan case: store lsb of bf16
v_add3_u32 v6, v[vgprValuC+101], v6, v9            // Non-Nan case: add lsb and the increment for rounding
v_cndmask_b32 v[vgprValuC+101], v6, v8, s[52:53]   // 
v_lshrrev_b32 v[vgprValuC+101], 16, v[vgprValuC+101] // convert C to bf16
_buffer_store_b16 v101, v100, s[sgprSrdD:sgprSrdD+3], 0, offen, offset:0,  sc0 sc1 // store D
v_cmp_u_f32 s[52:53], v[vgprValuC+103], v[vgprValuC+103] // check Nan
v_bfe_u32 v6, v[vgprValuC+103], 16, 1              // Non-Nan case: store lsb of bf16
v_add3_u32 v6, v[vgprValuC+103], v6, v9            // Non-Nan case: add lsb and the increment for rounding
v_cndmask_b32 v[vgprValuC+103], v6, v8, s[52:53]   // 
v_lshrrev_b32 v[vgprValuC+103], 16, v[vgprValuC+103] // convert C to bf16
_buffer_store_b16 v103, v102, s[sgprSrdD:sgprSrdD+3], 0, offen, offset:0,  sc0 sc1 // store D
	;; [unrolled: 6-line block ×77, first 2 shown]
s_nop 0                                            // 1 wait state required when next inst writes vgprs held by previous dwordx4 store inst
/* optSingleColVgpr=0 optSharedColVgpr=0 optSGPRUsage=BufferLoad_Edge_Mask optSrdIncForRow=0 */

/******************************************/
/* Global Write Alpha Edge Batch #1 (d1,d0,vc1,vc0) = */
/*    (3,0,6,2:vw1); (3,0,6,3:vw1); (3,0,7,0:vw1); (3,0,7,1:vw1); (3,0,7,2:vw1); (3,0,7,3:vw1); (4,0,0,0:vw1); (4,0,0,1:vw1); (4,0,0,2:vw1); (4,0,0,3:vw1); (4,0,1,0:vw1); (4,0,1,1:vw1); (4,0,1,2:vw1); (4,0,1,3:vw1); (4,0,2,0:vw1); (4,0,2,1:vw1); (4,0,2,2:vw1); (4,0,2,3:vw1); (4,0,3,0:vw1); (4,0,3,1:vw1); (4,0,3,2:vw1); (4,0,3,3:vw1); (4,0,4,0:vw1); (4,0,4,1:vw1); (4,0,4,2:vw1); (4,0,4,3:vw1); (4,0,5,0:vw1); (4,0,5,1:vw1); (4,0,5,2:vw1); (4,0,5,3:vw1); (4,0,6,0:vw1); (4,0,6,1:vw1); (4,0,6,2:vw1); (4,0,6,3:vw1); (4,0,7,0:vw1); (4,0,7,1:vw1); (4,0,7,2:vw1); (4,0,7,3:vw1); (5,0,0,0:vw1); (5,0,0,1:vw1); (5,0,0,2:vw1); (5,0,0,3:vw1); (5,0,1,0:vw1); (5,0,1,1:vw1); (5,0,1,2:vw1); (5,0,1,3:vw1); (5,0,2,0:vw1); (5,0,2,1:vw1); (5,0,2,2:vw1); (5,0,2,3:vw1); (5,0,3,0:vw1); (5,0,3,1:vw1); (5,0,3,2:vw1); (5,0,3,3:vw1); (5,0,4,0:vw1); (5,0,4,1:vw1); (5,0,4,2:vw1); (5,0,4,3:vw1); (5,0,5,0:vw1); (5,0,5,1:vw1); (5,0,5,2:vw1); (5,0,5,3:vw1); (5,0,6,0:vw1); (5,0,6,1:vw1); (5,0,6,2:vw1); (5,0,6,3:vw1); (5,0,7,0:vw1); (5,0,7,1:vw1); (5,0,7,2:vw1); (5,0,7,3:vw1); (6,0,0,0:vw1); (6,0,0,1:vw1); (6,0,0,2:vw1); (6,0,0,3:vw1); (6,0,1,0:vw1); (6,0,1,1:vw1); (6,0,1,2:vw1); (6,0,1,3:vw1); (6,0,2,0:vw1); (6,0,2,1:vw1); (6,0,2,2:vw1); (6,0,2,3:vw1); (6,0,3,0:vw1); (6,0,3,1:vw1); (6,0,3,2:vw1); (6,0,3,3:vw1); (6,0,4,0:vw1); (6,0,4,1:vw1); (6,0,4,2:vw1); (6,0,4,3:vw1); (6,0,5,0:vw1); (6,0,5,1:vw1); (6,0,5,2:vw1); (6,0,5,3:vw1); (6,0,6,0:vw1); (6,0,6,1:vw1); (6,0,6,2:vw1); (6,0,6,3:vw1); (6,0,7,0:vw1); (6,0,7,1:vw1); (6,0,7,2:vw1); (6,0,7,3:vw1); (7,0,0,0:vw1); (7,0,0,1:vw1); (7,0,0,2:vw1); (7,0,0,3:vw1); (7,0,1,0:vw1); (7,0,1,1:vw1); (7,0,1,2:vw1); (7,0,1,3:vw1); (7,0,2,0:vw1); (7,0,2,1:vw1); (7,0,2,2:vw1); (7,0,2,3:vw1); (7,0,3,0:vw1); (7,0,3,1:vw1); (7,0,3,2:vw1); (7,0,3,3:vw1); (7,0,4,0:vw1); (7,0,4,1:vw1); (7,0,4,2:vw1); (7,0,4,3:vw1) */
/******************************************/

/* calc coords, apply mask, and issue loads (if necessary) */
/* (d1,vc1,d0,vc0)=(3,6,0,2) */
_v_add_co_u32 v4, vcc, v0, 2                       // coord0.1: coord0 += d0*sg0*VW + vc0
v_cmp_lt_u32 s[52:53], v4, s[sgprSizeI]            // coord0 < size0
v_cmp_lt_u32 s[56:57], v1, s[sgprSizeJ]            // coord1 < size1
s_and_b64 s[56:57], s[52:53], s[56:57]             // in0 && in1
_v_add_lshl_u32 v10, v3, v4, 0x1                   // scaleToBpe: accumulate d0 lower and *= bpe into Cin addr
v_cndmask_b32 v10, -1, v10, s[56:57]               // LDD clip if OOB. offset
/* (d1,vc1,d0,vc0)=(3,6,0,3) */
_v_add_co_u32 v4, vcc, v0, 3                       // coord0.1: coord0 += d0*sg0*VW + vc0
v_cmp_lt_u32 s[52:53], v4, s[sgprSizeI]            // coord0 < size0
v_cmp_lt_u32 s[56:57], v1, s[sgprSizeJ]            // coord1 < size1
s_and_b64 s[56:57], s[52:53], s[56:57]             // in0 && in1
_v_add_lshl_u32 v12, v3, v4, 0x1                   // scaleToBpe: accumulate d0 lower and *= bpe into Cin addr
v_cndmask_b32 v12, -1, v12, s[56:57]               // LDD clip if OOB. offset
/* (d1,vc1,d0,vc0)=(3,7,0,0) */
_v_add_co_u32 v1, vcc, v1, 1                       // coord1.1: coord1Vgpr += d1*sg1*VW + vc1

/* Fix for UseInitialStridesCD, emitAddressSetupCode */
_v_add_u32 v2, v2, s[sgprStrideC1J]                // ROWINC- Move cinRowPtr to next row
_v_add_u32 v3, v3, s[sgprStrideD1J]                // Move coutRowPtr to next row
v_cmp_lt_u32 s[52:53], v0, s[sgprSizeI]            // coord0 < size0
v_cmp_lt_u32 s[56:57], v1, s[sgprSizeJ]            // coord1 < size1
s_and_b64 s[56:57], s[52:53], s[56:57]             // in0 && in1
_v_add_lshl_u32 v14, v3, v0, 0x1                   // scaleToBpe: accumulate d0 lower and *= bpe into Cin addr
v_cndmask_b32 v14, -1, v14, s[56:57]               // LDD clip if OOB. offset
/* (d1,vc1,d0,vc0)=(3,7,0,1) */
_v_add_co_u32 v4, vcc, v0, 1                       // coord0.1: coord0 += d0*sg0*VW + vc0
v_cmp_lt_u32 s[52:53], v4, s[sgprSizeI]            // coord0 < size0
v_cmp_lt_u32 s[56:57], v1, s[sgprSizeJ]            // coord1 < size1
s_and_b64 s[56:57], s[52:53], s[56:57]             // in0 && in1
_v_add_lshl_u32 v16, v3, v4, 0x1                   // scaleToBpe: accumulate d0 lower and *= bpe into Cin addr
v_cndmask_b32 v16, -1, v16, s[56:57]               // LDD clip if OOB. offset
/* (d1,vc1,d0,vc0)=(3,7,0,2) */
_v_add_co_u32 v4, vcc, v0, 2                       // coord0.1: coord0 += d0*sg0*VW + vc0
v_cmp_lt_u32 s[52:53], v4, s[sgprSizeI]            // coord0 < size0
v_cmp_lt_u32 s[56:57], v1, s[sgprSizeJ]            // coord1 < size1
s_and_b64 s[56:57], s[52:53], s[56:57]             // in0 && in1
_v_add_lshl_u32 v18, v3, v4, 0x1                   // scaleToBpe: accumulate d0 lower and *= bpe into Cin addr
v_cndmask_b32 v18, -1, v18, s[56:57]               // LDD clip if OOB. offset
/* (d1,vc1,d0,vc0)=(3,7,0,3) */
_v_add_co_u32 v4, vcc, v0, 3                       // coord0.1: coord0 += d0*sg0*VW + vc0
v_cmp_lt_u32 s[52:53], v4, s[sgprSizeI]            // coord0 < size0
v_cmp_lt_u32 s[56:57], v1, s[sgprSizeJ]            // coord1 < size1
s_and_b64 s[56:57], s[52:53], s[56:57]             // in0 && in1
_v_add_lshl_u32 v20, v3, v4, 0x1                   // scaleToBpe: accumulate d0 lower and *= bpe into Cin addr
v_cndmask_b32 v20, -1, v20, s[56:57]               // LDD clip if OOB. offset
/* (d1,vc1,d0,vc0)=(4,0,0,0) */
_v_add_co_u32 v1, vcc, v1, 25                      // coord1.1: coord1Vgpr += d1*sg1*VW + vc1

/* Fix for UseInitialStridesCD, emitAddressSetupCode */
s_mul_i32 s52, s[sgprStrideC1J], 25                // scale stride
_v_add_u32 v2, v2, s52                             // ROWINC- Move cinRowPtr to next row
s_mul_i32 s52, s[sgprStrideD1J], 25                // scale stride
_v_add_u32 v3, v3, s52                             // Move coutRowPtr to next row
v_cmp_lt_u32 s[52:53], v0, s[sgprSizeI]            // coord0 < size0
v_cmp_lt_u32 s[56:57], v1, s[sgprSizeJ]            // coord1 < size1
s_and_b64 s[56:57], s[52:53], s[56:57]             // in0 && in1
_v_add_lshl_u32 v22, v3, v0, 0x1                   // scaleToBpe: accumulate d0 lower and *= bpe into Cin addr
v_cndmask_b32 v22, -1, v22, s[56:57]               // LDD clip if OOB. offset
/* (d1,vc1,d0,vc0)=(4,0,0,1) */
_v_add_co_u32 v4, vcc, v0, 1                       // coord0.1: coord0 += d0*sg0*VW + vc0
v_cmp_lt_u32 s[52:53], v4, s[sgprSizeI]            // coord0 < size0
v_cmp_lt_u32 s[56:57], v1, s[sgprSizeJ]            // coord1 < size1
s_and_b64 s[56:57], s[52:53], s[56:57]             // in0 && in1
_v_add_lshl_u32 v24, v3, v4, 0x1                   // scaleToBpe: accumulate d0 lower and *= bpe into Cin addr
v_cndmask_b32 v24, -1, v24, s[56:57]               // LDD clip if OOB. offset
/* (d1,vc1,d0,vc0)=(4,0,0,2) */
_v_add_co_u32 v4, vcc, v0, 2                       // coord0.1: coord0 += d0*sg0*VW + vc0
v_cmp_lt_u32 s[52:53], v4, s[sgprSizeI]            // coord0 < size0
v_cmp_lt_u32 s[56:57], v1, s[sgprSizeJ]            // coord1 < size1
s_and_b64 s[56:57], s[52:53], s[56:57]             // in0 && in1
_v_add_lshl_u32 v26, v3, v4, 0x1                   // scaleToBpe: accumulate d0 lower and *= bpe into Cin addr
v_cndmask_b32 v26, -1, v26, s[56:57]               // LDD clip if OOB. offset
/* (d1,vc1,d0,vc0)=(4,0,0,3) */
_v_add_co_u32 v4, vcc, v0, 3                       // coord0.1: coord0 += d0*sg0*VW + vc0
v_cmp_lt_u32 s[52:53], v4, s[sgprSizeI]            // coord0 < size0
v_cmp_lt_u32 s[56:57], v1, s[sgprSizeJ]            // coord1 < size1
s_and_b64 s[56:57], s[52:53], s[56:57]             // in0 && in1
_v_add_lshl_u32 v28, v3, v4, 0x1                   // scaleToBpe: accumulate d0 lower and *= bpe into Cin addr
v_cndmask_b32 v28, -1, v28, s[56:57]               // LDD clip if OOB. offset
/* (d1,vc1,d0,vc0)=(4,1,0,0) */
_v_add_co_u32 v1, vcc, v1, 1                       // coord1.1: coord1Vgpr += d1*sg1*VW + vc1

/* Fix for UseInitialStridesCD, emitAddressSetupCode */
_v_add_u32 v2, v2, s[sgprStrideC1J]                // ROWINC- Move cinRowPtr to next row
_v_add_u32 v3, v3, s[sgprStrideD1J]                // Move coutRowPtr to next row
v_cmp_lt_u32 s[52:53], v0, s[sgprSizeI]            // coord0 < size0
v_cmp_lt_u32 s[56:57], v1, s[sgprSizeJ]            // coord1 < size1
s_and_b64 s[56:57], s[52:53], s[56:57]             // in0 && in1
_v_add_lshl_u32 v30, v3, v0, 0x1                   // scaleToBpe: accumulate d0 lower and *= bpe into Cin addr
v_cndmask_b32 v30, -1, v30, s[56:57]               // LDD clip if OOB. offset
/* (d1,vc1,d0,vc0)=(4,1,0,1) */
_v_add_co_u32 v4, vcc, v0, 1                       // coord0.1: coord0 += d0*sg0*VW + vc0
v_cmp_lt_u32 s[52:53], v4, s[sgprSizeI]            // coord0 < size0
v_cmp_lt_u32 s[56:57], v1, s[sgprSizeJ]            // coord1 < size1
s_and_b64 s[56:57], s[52:53], s[56:57]             // in0 && in1
_v_add_lshl_u32 v32, v3, v4, 0x1                   // scaleToBpe: accumulate d0 lower and *= bpe into Cin addr
v_cndmask_b32 v32, -1, v32, s[56:57]               // LDD clip if OOB. offset
/* (d1,vc1,d0,vc0)=(4,1,0,2) */
_v_add_co_u32 v4, vcc, v0, 2                       // coord0.1: coord0 += d0*sg0*VW + vc0
v_cmp_lt_u32 s[52:53], v4, s[sgprSizeI]            // coord0 < size0
v_cmp_lt_u32 s[56:57], v1, s[sgprSizeJ]            // coord1 < size1
s_and_b64 s[56:57], s[52:53], s[56:57]             // in0 && in1
_v_add_lshl_u32 v34, v3, v4, 0x1                   // scaleToBpe: accumulate d0 lower and *= bpe into Cin addr
v_cndmask_b32 v34, -1, v34, s[56:57]               // LDD clip if OOB. offset
/* (d1,vc1,d0,vc0)=(4,1,0,3) */
_v_add_co_u32 v4, vcc, v0, 3                       // coord0.1: coord0 += d0*sg0*VW + vc0
v_cmp_lt_u32 s[52:53], v4, s[sgprSizeI]            // coord0 < size0
v_cmp_lt_u32 s[56:57], v1, s[sgprSizeJ]            // coord1 < size1
s_and_b64 s[56:57], s[52:53], s[56:57]             // in0 && in1
_v_add_lshl_u32 v36, v3, v4, 0x1                   // scaleToBpe: accumulate d0 lower and *= bpe into Cin addr
v_cndmask_b32 v36, -1, v36, s[56:57]               // LDD clip if OOB. offset
/* (d1,vc1,d0,vc0)=(4,2,0,0) */
_v_add_co_u32 v1, vcc, v1, 1                       // coord1.1: coord1Vgpr += d1*sg1*VW + vc1

/* Fix for UseInitialStridesCD, emitAddressSetupCode */
_v_add_u32 v2, v2, s[sgprStrideC1J]                // ROWINC- Move cinRowPtr to next row
_v_add_u32 v3, v3, s[sgprStrideD1J]                // Move coutRowPtr to next row
	;; [unrolled: 32-line block ×7, first 2 shown]
v_cmp_lt_u32 s[52:53], v0, s[sgprSizeI]            // coord0 < size0
v_cmp_lt_u32 s[56:57], v1, s[sgprSizeJ]            // coord1 < size1
s_and_b64 s[56:57], s[52:53], s[56:57]             // in0 && in1
_v_add_lshl_u32 v78, v3, v0, 0x1                   // scaleToBpe: accumulate d0 lower and *= bpe into Cin addr
v_cndmask_b32 v78, -1, v78, s[56:57]               // LDD clip if OOB. offset
/* (d1,vc1,d0,vc0)=(4,7,0,1) */
_v_add_co_u32 v4, vcc, v0, 1                       // coord0.1: coord0 += d0*sg0*VW + vc0
v_cmp_lt_u32 s[52:53], v4, s[sgprSizeI]            // coord0 < size0
v_cmp_lt_u32 s[56:57], v1, s[sgprSizeJ]            // coord1 < size1
s_and_b64 s[56:57], s[52:53], s[56:57]             // in0 && in1
_v_add_lshl_u32 v80, v3, v4, 0x1                   // scaleToBpe: accumulate d0 lower and *= bpe into Cin addr
v_cndmask_b32 v80, -1, v80, s[56:57]               // LDD clip if OOB. offset
/* (d1,vc1,d0,vc0)=(4,7,0,2) */
_v_add_co_u32 v4, vcc, v0, 2                       // coord0.1: coord0 += d0*sg0*VW + vc0
	;; [unrolled: 7-line block ×3, first 2 shown]
v_cmp_lt_u32 s[52:53], v4, s[sgprSizeI]            // coord0 < size0
v_cmp_lt_u32 s[56:57], v1, s[sgprSizeJ]            // coord1 < size1
s_and_b64 s[56:57], s[52:53], s[56:57]             // in0 && in1
_v_add_lshl_u32 v84, v3, v4, 0x1                   // scaleToBpe: accumulate d0 lower and *= bpe into Cin addr
v_cndmask_b32 v84, -1, v84, s[56:57]               // LDD clip if OOB. offset
/* (d1,vc1,d0,vc0)=(5,0,0,0) */
_v_add_co_u32 v1, vcc, v1, 25                      // coord1.1: coord1Vgpr += d1*sg1*VW + vc1

/* Fix for UseInitialStridesCD, emitAddressSetupCode */
s_mul_i32 s52, s[sgprStrideC1J], 25                // scale stride
_v_add_u32 v2, v2, s52                             // ROWINC- Move cinRowPtr to next row
s_mul_i32 s52, s[sgprStrideD1J], 25                // scale stride
_v_add_u32 v3, v3, s52                             // Move coutRowPtr to next row
v_cmp_lt_u32 s[52:53], v0, s[sgprSizeI]            // coord0 < size0
v_cmp_lt_u32 s[56:57], v1, s[sgprSizeJ]            // coord1 < size1
s_and_b64 s[56:57], s[52:53], s[56:57]             // in0 && in1
_v_add_lshl_u32 v86, v3, v0, 0x1                   // scaleToBpe: accumulate d0 lower and *= bpe into Cin addr
v_cndmask_b32 v86, -1, v86, s[56:57]               // LDD clip if OOB. offset
/* (d1,vc1,d0,vc0)=(5,0,0,1) */
_v_add_co_u32 v4, vcc, v0, 1                       // coord0.1: coord0 += d0*sg0*VW + vc0
v_cmp_lt_u32 s[52:53], v4, s[sgprSizeI]            // coord0 < size0
v_cmp_lt_u32 s[56:57], v1, s[sgprSizeJ]            // coord1 < size1
s_and_b64 s[56:57], s[52:53], s[56:57]             // in0 && in1
_v_add_lshl_u32 v88, v3, v4, 0x1                   // scaleToBpe: accumulate d0 lower and *= bpe into Cin addr
v_cndmask_b32 v88, -1, v88, s[56:57]               // LDD clip if OOB. offset
/* (d1,vc1,d0,vc0)=(5,0,0,2) */
_v_add_co_u32 v4, vcc, v0, 2                       // coord0.1: coord0 += d0*sg0*VW + vc0
	;; [unrolled: 7-line block ×3, first 2 shown]
v_cmp_lt_u32 s[52:53], v4, s[sgprSizeI]            // coord0 < size0
v_cmp_lt_u32 s[56:57], v1, s[sgprSizeJ]            // coord1 < size1
s_and_b64 s[56:57], s[52:53], s[56:57]             // in0 && in1
_v_add_lshl_u32 v92, v3, v4, 0x1                   // scaleToBpe: accumulate d0 lower and *= bpe into Cin addr
v_cndmask_b32 v92, -1, v92, s[56:57]               // LDD clip if OOB. offset
/* (d1,vc1,d0,vc0)=(5,1,0,0) */
_v_add_co_u32 v1, vcc, v1, 1                       // coord1.1: coord1Vgpr += d1*sg1*VW + vc1

/* Fix for UseInitialStridesCD, emitAddressSetupCode */
_v_add_u32 v2, v2, s[sgprStrideC1J]                // ROWINC- Move cinRowPtr to next row
_v_add_u32 v3, v3, s[sgprStrideD1J]                // Move coutRowPtr to next row
v_cmp_lt_u32 s[52:53], v0, s[sgprSizeI]            // coord0 < size0
v_cmp_lt_u32 s[56:57], v1, s[sgprSizeJ]            // coord1 < size1
s_and_b64 s[56:57], s[52:53], s[56:57]             // in0 && in1
_v_add_lshl_u32 v94, v3, v0, 0x1                   // scaleToBpe: accumulate d0 lower and *= bpe into Cin addr
v_cndmask_b32 v94, -1, v94, s[56:57]               // LDD clip if OOB. offset
/* (d1,vc1,d0,vc0)=(5,1,0,1) */
_v_add_co_u32 v4, vcc, v0, 1                       // coord0.1: coord0 += d0*sg0*VW + vc0
v_cmp_lt_u32 s[52:53], v4, s[sgprSizeI]            // coord0 < size0
v_cmp_lt_u32 s[56:57], v1, s[sgprSizeJ]            // coord1 < size1
s_and_b64 s[56:57], s[52:53], s[56:57]             // in0 && in1
_v_add_lshl_u32 v96, v3, v4, 0x1                   // scaleToBpe: accumulate d0 lower and *= bpe into Cin addr
v_cndmask_b32 v96, -1, v96, s[56:57]               // LDD clip if OOB. offset
/* (d1,vc1,d0,vc0)=(5,1,0,2) */
_v_add_co_u32 v4, vcc, v0, 2                       // coord0.1: coord0 += d0*sg0*VW + vc0
	;; [unrolled: 7-line block ×3, first 2 shown]
v_cmp_lt_u32 s[52:53], v4, s[sgprSizeI]            // coord0 < size0
v_cmp_lt_u32 s[56:57], v1, s[sgprSizeJ]            // coord1 < size1
s_and_b64 s[56:57], s[52:53], s[56:57]             // in0 && in1
_v_add_lshl_u32 v100, v3, v4, 0x1                  // scaleToBpe: accumulate d0 lower and *= bpe into Cin addr
v_cndmask_b32 v100, -1, v100, s[56:57]             // LDD clip if OOB. offset
/* (d1,vc1,d0,vc0)=(5,2,0,0) */
_v_add_co_u32 v1, vcc, v1, 1                       // coord1.1: coord1Vgpr += d1*sg1*VW + vc1

/* Fix for UseInitialStridesCD, emitAddressSetupCode */
_v_add_u32 v2, v2, s[sgprStrideC1J]                // ROWINC- Move cinRowPtr to next row
_v_add_u32 v3, v3, s[sgprStrideD1J]                // Move coutRowPtr to next row
v_cmp_lt_u32 s[52:53], v0, s[sgprSizeI]            // coord0 < size0
v_cmp_lt_u32 s[56:57], v1, s[sgprSizeJ]            // coord1 < size1
s_and_b64 s[56:57], s[52:53], s[56:57]             // in0 && in1
_v_add_lshl_u32 v102, v3, v0, 0x1                  // scaleToBpe: accumulate d0 lower and *= bpe into Cin addr
v_cndmask_b32 v102, -1, v102, s[56:57]             // LDD clip if OOB. offset
/* (d1,vc1,d0,vc0)=(5,2,0,1) */
_v_add_co_u32 v4, vcc, v0, 1                       // coord0.1: coord0 += d0*sg0*VW + vc0
v_cmp_lt_u32 s[52:53], v4, s[sgprSizeI]            // coord0 < size0
v_cmp_lt_u32 s[56:57], v1, s[sgprSizeJ]            // coord1 < size1
s_and_b64 s[56:57], s[52:53], s[56:57]             // in0 && in1
_v_add_lshl_u32 v104, v3, v4, 0x1                  // scaleToBpe: accumulate d0 lower and *= bpe into Cin addr
v_cndmask_b32 v104, -1, v104, s[56:57]             // LDD clip if OOB. offset
/* (d1,vc1,d0,vc0)=(5,2,0,2) */
_v_add_co_u32 v4, vcc, v0, 2                       // coord0.1: coord0 += d0*sg0*VW + vc0
v_cmp_lt_u32 s[52:53], v4, s[sgprSizeI]            // coord0 < size0
v_cmp_lt_u32 s[56:57], v1, s[sgprSizeJ]            // coord1 < size1
s_and_b64 s[56:57], s[52:53], s[56:57]             // in0 && in1
_v_add_lshl_u32 v106, v3, v4, 0x1                  // scaleToBpe: accumulate d0 lower and *= bpe into Cin addr
v_cndmask_b32 v106, -1, v106, s[56:57]             // LDD clip if OOB. offset
/* (d1,vc1,d0,vc0)=(5,2,0,3) */
_v_add_co_u32 v4, vcc, v0, 3                       // coord0.1: coord0 += d0*sg0*VW + vc0
v_cmp_lt_u32 s[52:53], v4, s[sgprSizeI]            // coord0 < size0
v_cmp_lt_u32 s[56:57], v1, s[sgprSizeJ]            // coord1 < size1
s_and_b64 s[56:57], s[52:53], s[56:57]             // in0 && in1
_v_add_lshl_u32 v108, v3, v4, 0x1                  // scaleToBpe: accumulate d0 lower and *= bpe into Cin addr
v_cndmask_b32 v108, -1, v108, s[56:57]             // LDD clip if OOB. offset
/* (d1,vc1,d0,vc0)=(5,3,0,0) */
_v_add_co_u32 v1, vcc, v1, 1                       // coord1.1: coord1Vgpr += d1*sg1*VW + vc1

/* Fix for UseInitialStridesCD, emitAddressSetupCode */
_v_add_u32 v2, v2, s[sgprStrideC1J]                // ROWINC- Move cinRowPtr to next row
_v_add_u32 v3, v3, s[sgprStrideD1J]                // Move coutRowPtr to next row
v_cmp_lt_u32 s[52:53], v0, s[sgprSizeI]            // coord0 < size0
v_cmp_lt_u32 s[56:57], v1, s[sgprSizeJ]            // coord1 < size1
s_and_b64 s[56:57], s[52:53], s[56:57]             // in0 && in1
_v_add_lshl_u32 v110, v3, v0, 0x1                  // scaleToBpe: accumulate d0 lower and *= bpe into Cin addr
v_cndmask_b32 v110, -1, v110, s[56:57]             // LDD clip if OOB. offset
/* (d1,vc1,d0,vc0)=(5,3,0,1) */
_v_add_co_u32 v4, vcc, v0, 1                       // coord0.1: coord0 += d0*sg0*VW + vc0
v_cmp_lt_u32 s[52:53], v4, s[sgprSizeI]            // coord0 < size0
v_cmp_lt_u32 s[56:57], v1, s[sgprSizeJ]            // coord1 < size1
s_and_b64 s[56:57], s[52:53], s[56:57]             // in0 && in1
_v_add_lshl_u32 v112, v3, v4, 0x1                  // scaleToBpe: accumulate d0 lower and *= bpe into Cin addr
v_cndmask_b32 v112, -1, v112, s[56:57]             // LDD clip if OOB. offset
/* (d1,vc1,d0,vc0)=(5,3,0,2) */
_v_add_co_u32 v4, vcc, v0, 2                       // coord0.1: coord0 += d0*sg0*VW + vc0
v_cmp_lt_u32 s[52:53], v4, s[sgprSizeI]            // coord0 < size0
v_cmp_lt_u32 s[56:57], v1, s[sgprSizeJ]            // coord1 < size1
s_and_b64 s[56:57], s[52:53], s[56:57]             // in0 && in1
_v_add_lshl_u32 v114, v3, v4, 0x1                  // scaleToBpe: accumulate d0 lower and *= bpe into Cin addr
v_cndmask_b32 v114, -1, v114, s[56:57]             // LDD clip if OOB. offset
/* (d1,vc1,d0,vc0)=(5,3,0,3) */
_v_add_co_u32 v4, vcc, v0, 3                       // coord0.1: coord0 += d0*sg0*VW + vc0
	;; [unrolled: 32-line block ×6, first 2 shown]
v_cmp_lt_u32 s[52:53], v4, s[sgprSizeI]            // coord0 < size0
v_cmp_lt_u32 s[56:57], v1, s[sgprSizeJ]            // coord1 < size1
s_and_b64 s[56:57], s[52:53], s[56:57]             // in0 && in1
_v_add_lshl_u32 v148, v3, v4, 0x1                  // scaleToBpe: accumulate d0 lower and *= bpe into Cin addr
v_cndmask_b32 v148, -1, v148, s[56:57]             // LDD clip if OOB. offset
/* (d1,vc1,d0,vc0)=(6,0,0,0) */
_v_add_co_u32 v1, vcc, v1, 25                      // coord1.1: coord1Vgpr += d1*sg1*VW + vc1

/* Fix for UseInitialStridesCD, emitAddressSetupCode */
s_mul_i32 s52, s[sgprStrideC1J], 25                // scale stride
_v_add_u32 v2, v2, s52                             // ROWINC- Move cinRowPtr to next row
s_mul_i32 s52, s[sgprStrideD1J], 25                // scale stride
_v_add_u32 v3, v3, s52                             // Move coutRowPtr to next row
v_cmp_lt_u32 s[52:53], v0, s[sgprSizeI]            // coord0 < size0
v_cmp_lt_u32 s[56:57], v1, s[sgprSizeJ]            // coord1 < size1
s_and_b64 s[56:57], s[52:53], s[56:57]             // in0 && in1
_v_add_lshl_u32 v150, v3, v0, 0x1                  // scaleToBpe: accumulate d0 lower and *= bpe into Cin addr
v_cndmask_b32 v150, -1, v150, s[56:57]             // LDD clip if OOB. offset
/* (d1,vc1,d0,vc0)=(6,0,0,1) */
_v_add_co_u32 v4, vcc, v0, 1                       // coord0.1: coord0 += d0*sg0*VW + vc0
v_cmp_lt_u32 s[52:53], v4, s[sgprSizeI]            // coord0 < size0
v_cmp_lt_u32 s[56:57], v1, s[sgprSizeJ]            // coord1 < size1
s_and_b64 s[56:57], s[52:53], s[56:57]             // in0 && in1
_v_add_lshl_u32 v152, v3, v4, 0x1                  // scaleToBpe: accumulate d0 lower and *= bpe into Cin addr
v_cndmask_b32 v152, -1, v152, s[56:57]             // LDD clip if OOB. offset
/* (d1,vc1,d0,vc0)=(6,0,0,2) */
_v_add_co_u32 v4, vcc, v0, 2                       // coord0.1: coord0 += d0*sg0*VW + vc0
v_cmp_lt_u32 s[52:53], v4, s[sgprSizeI]            // coord0 < size0
v_cmp_lt_u32 s[56:57], v1, s[sgprSizeJ]            // coord1 < size1
s_and_b64 s[56:57], s[52:53], s[56:57]             // in0 && in1
_v_add_lshl_u32 v154, v3, v4, 0x1                  // scaleToBpe: accumulate d0 lower and *= bpe into Cin addr
v_cndmask_b32 v154, -1, v154, s[56:57]             // LDD clip if OOB. offset
/* (d1,vc1,d0,vc0)=(6,0,0,3) */
_v_add_co_u32 v4, vcc, v0, 3                       // coord0.1: coord0 += d0*sg0*VW + vc0
v_cmp_lt_u32 s[52:53], v4, s[sgprSizeI]            // coord0 < size0
v_cmp_lt_u32 s[56:57], v1, s[sgprSizeJ]            // coord1 < size1
s_and_b64 s[56:57], s[52:53], s[56:57]             // in0 && in1
_v_add_lshl_u32 v156, v3, v4, 0x1                  // scaleToBpe: accumulate d0 lower and *= bpe into Cin addr
v_cndmask_b32 v156, -1, v156, s[56:57]             // LDD clip if OOB. offset
/* (d1,vc1,d0,vc0)=(6,1,0,0) */
_v_add_co_u32 v1, vcc, v1, 1                       // coord1.1: coord1Vgpr += d1*sg1*VW + vc1

/* Fix for UseInitialStridesCD, emitAddressSetupCode */
_v_add_u32 v2, v2, s[sgprStrideC1J]                // ROWINC- Move cinRowPtr to next row
_v_add_u32 v3, v3, s[sgprStrideD1J]                // Move coutRowPtr to next row
v_cmp_lt_u32 s[52:53], v0, s[sgprSizeI]            // coord0 < size0
v_cmp_lt_u32 s[56:57], v1, s[sgprSizeJ]            // coord1 < size1
s_and_b64 s[56:57], s[52:53], s[56:57]             // in0 && in1
_v_add_lshl_u32 v158, v3, v0, 0x1                  // scaleToBpe: accumulate d0 lower and *= bpe into Cin addr
v_cndmask_b32 v158, -1, v158, s[56:57]             // LDD clip if OOB. offset
/* (d1,vc1,d0,vc0)=(6,1,0,1) */
_v_add_co_u32 v4, vcc, v0, 1                       // coord0.1: coord0 += d0*sg0*VW + vc0
v_cmp_lt_u32 s[52:53], v4, s[sgprSizeI]            // coord0 < size0
v_cmp_lt_u32 s[56:57], v1, s[sgprSizeJ]            // coord1 < size1
s_and_b64 s[56:57], s[52:53], s[56:57]             // in0 && in1
_v_add_lshl_u32 v160, v3, v4, 0x1                  // scaleToBpe: accumulate d0 lower and *= bpe into Cin addr
v_cndmask_b32 v160, -1, v160, s[56:57]             // LDD clip if OOB. offset
/* (d1,vc1,d0,vc0)=(6,1,0,2) */
_v_add_co_u32 v4, vcc, v0, 2                       // coord0.1: coord0 += d0*sg0*VW + vc0
v_cmp_lt_u32 s[52:53], v4, s[sgprSizeI]            // coord0 < size0
v_cmp_lt_u32 s[56:57], v1, s[sgprSizeJ]            // coord1 < size1
s_and_b64 s[56:57], s[52:53], s[56:57]             // in0 && in1
_v_add_lshl_u32 v162, v3, v4, 0x1                  // scaleToBpe: accumulate d0 lower and *= bpe into Cin addr
v_cndmask_b32 v162, -1, v162, s[56:57]             // LDD clip if OOB. offset
/* (d1,vc1,d0,vc0)=(6,1,0,3) */
_v_add_co_u32 v4, vcc, v0, 3                       // coord0.1: coord0 += d0*sg0*VW + vc0
v_cmp_lt_u32 s[52:53], v4, s[sgprSizeI]            // coord0 < size0
v_cmp_lt_u32 s[56:57], v1, s[sgprSizeJ]            // coord1 < size1
s_and_b64 s[56:57], s[52:53], s[56:57]             // in0 && in1
_v_add_lshl_u32 v164, v3, v4, 0x1                  // scaleToBpe: accumulate d0 lower and *= bpe into Cin addr
v_cndmask_b32 v164, -1, v164, s[56:57]             // LDD clip if OOB. offset
/* (d1,vc1,d0,vc0)=(6,2,0,0) */
_v_add_co_u32 v1, vcc, v1, 1                       // coord1.1: coord1Vgpr += d1*sg1*VW + vc1

/* Fix for UseInitialStridesCD, emitAddressSetupCode */
_v_add_u32 v2, v2, s[sgprStrideC1J]                // ROWINC- Move cinRowPtr to next row
_v_add_u32 v3, v3, s[sgprStrideD1J]                // Move coutRowPtr to next row
	;; [unrolled: 32-line block ×7, first 2 shown]
v_cmp_lt_u32 s[52:53], v0, s[sgprSizeI]            // coord0 < size0
v_cmp_lt_u32 s[56:57], v1, s[sgprSizeJ]            // coord1 < size1
s_and_b64 s[56:57], s[52:53], s[56:57]             // in0 && in1
_v_add_lshl_u32 v206, v3, v0, 0x1                  // scaleToBpe: accumulate d0 lower and *= bpe into Cin addr
v_cndmask_b32 v206, -1, v206, s[56:57]             // LDD clip if OOB. offset
/* (d1,vc1,d0,vc0)=(6,7,0,1) */
_v_add_co_u32 v4, vcc, v0, 1                       // coord0.1: coord0 += d0*sg0*VW + vc0
v_cmp_lt_u32 s[52:53], v4, s[sgprSizeI]            // coord0 < size0
v_cmp_lt_u32 s[56:57], v1, s[sgprSizeJ]            // coord1 < size1
s_and_b64 s[56:57], s[52:53], s[56:57]             // in0 && in1
_v_add_lshl_u32 v208, v3, v4, 0x1                  // scaleToBpe: accumulate d0 lower and *= bpe into Cin addr
v_cndmask_b32 v208, -1, v208, s[56:57]             // LDD clip if OOB. offset
/* (d1,vc1,d0,vc0)=(6,7,0,2) */
_v_add_co_u32 v4, vcc, v0, 2                       // coord0.1: coord0 += d0*sg0*VW + vc0
v_cmp_lt_u32 s[52:53], v4, s[sgprSizeI]            // coord0 < size0
v_cmp_lt_u32 s[56:57], v1, s[sgprSizeJ]            // coord1 < size1
s_and_b64 s[56:57], s[52:53], s[56:57]             // in0 && in1
_v_add_lshl_u32 v210, v3, v4, 0x1                  // scaleToBpe: accumulate d0 lower and *= bpe into Cin addr
v_cndmask_b32 v210, -1, v210, s[56:57]             // LDD clip if OOB. offset
/* (d1,vc1,d0,vc0)=(6,7,0,3) */
_v_add_co_u32 v4, vcc, v0, 3                       // coord0.1: coord0 += d0*sg0*VW + vc0
v_cmp_lt_u32 s[52:53], v4, s[sgprSizeI]            // coord0 < size0
v_cmp_lt_u32 s[56:57], v1, s[sgprSizeJ]            // coord1 < size1
s_and_b64 s[56:57], s[52:53], s[56:57]             // in0 && in1
_v_add_lshl_u32 v212, v3, v4, 0x1                  // scaleToBpe: accumulate d0 lower and *= bpe into Cin addr
v_cndmask_b32 v212, -1, v212, s[56:57]             // LDD clip if OOB. offset
/* (d1,vc1,d0,vc0)=(7,0,0,0) */
_v_add_co_u32 v1, vcc, v1, 25                      // coord1.1: coord1Vgpr += d1*sg1*VW + vc1

/* Fix for UseInitialStridesCD, emitAddressSetupCode */
s_mul_i32 s52, s[sgprStrideC1J], 25                // scale stride
_v_add_u32 v2, v2, s52                             // ROWINC- Move cinRowPtr to next row
s_mul_i32 s52, s[sgprStrideD1J], 25                // scale stride
_v_add_u32 v3, v3, s52                             // Move coutRowPtr to next row
v_cmp_lt_u32 s[52:53], v0, s[sgprSizeI]            // coord0 < size0
v_cmp_lt_u32 s[56:57], v1, s[sgprSizeJ]            // coord1 < size1
s_and_b64 s[56:57], s[52:53], s[56:57]             // in0 && in1
_v_add_lshl_u32 v214, v3, v0, 0x1                  // scaleToBpe: accumulate d0 lower and *= bpe into Cin addr
v_cndmask_b32 v214, -1, v214, s[56:57]             // LDD clip if OOB. offset
/* (d1,vc1,d0,vc0)=(7,0,0,1) */
_v_add_co_u32 v4, vcc, v0, 1                       // coord0.1: coord0 += d0*sg0*VW + vc0
v_cmp_lt_u32 s[52:53], v4, s[sgprSizeI]            // coord0 < size0
v_cmp_lt_u32 s[56:57], v1, s[sgprSizeJ]            // coord1 < size1
s_and_b64 s[56:57], s[52:53], s[56:57]             // in0 && in1
_v_add_lshl_u32 v216, v3, v4, 0x1                  // scaleToBpe: accumulate d0 lower and *= bpe into Cin addr
v_cndmask_b32 v216, -1, v216, s[56:57]             // LDD clip if OOB. offset
/* (d1,vc1,d0,vc0)=(7,0,0,2) */
_v_add_co_u32 v4, vcc, v0, 2                       // coord0.1: coord0 += d0*sg0*VW + vc0
v_cmp_lt_u32 s[52:53], v4, s[sgprSizeI]            // coord0 < size0
v_cmp_lt_u32 s[56:57], v1, s[sgprSizeJ]            // coord1 < size1
s_and_b64 s[56:57], s[52:53], s[56:57]             // in0 && in1
_v_add_lshl_u32 v220, v3, v4, 0x1                  // scaleToBpe: accumulate d0 lower and *= bpe into Cin addr
v_cndmask_b32 v220, -1, v220, s[56:57]             // LDD clip if OOB. offset
/* (d1,vc1,d0,vc0)=(7,0,0,3) */
_v_add_co_u32 v4, vcc, v0, 3                       // coord0.1: coord0 += d0*sg0*VW + vc0
v_cmp_lt_u32 s[52:53], v4, s[sgprSizeI]            // coord0 < size0
v_cmp_lt_u32 s[56:57], v1, s[sgprSizeJ]            // coord1 < size1
s_and_b64 s[56:57], s[52:53], s[56:57]             // in0 && in1
_v_add_lshl_u32 v222, v3, v4, 0x1                  // scaleToBpe: accumulate d0 lower and *= bpe into Cin addr
v_cndmask_b32 v222, -1, v222, s[56:57]             // LDD clip if OOB. offset
/* (d1,vc1,d0,vc0)=(7,1,0,0) */
_v_add_co_u32 v1, vcc, v1, 1                       // coord1.1: coord1Vgpr += d1*sg1*VW + vc1

/* Fix for UseInitialStridesCD, emitAddressSetupCode */
_v_add_u32 v2, v2, s[sgprStrideC1J]                // ROWINC- Move cinRowPtr to next row
_v_add_u32 v3, v3, s[sgprStrideD1J]                // Move coutRowPtr to next row
v_cmp_lt_u32 s[52:53], v0, s[sgprSizeI]            // coord0 < size0
v_cmp_lt_u32 s[56:57], v1, s[sgprSizeJ]            // coord1 < size1
s_and_b64 s[56:57], s[52:53], s[56:57]             // in0 && in1
_v_add_lshl_u32 v224, v3, v0, 0x1                  // scaleToBpe: accumulate d0 lower and *= bpe into Cin addr
v_cndmask_b32 v224, -1, v224, s[56:57]             // LDD clip if OOB. offset
/* (d1,vc1,d0,vc0)=(7,1,0,1) */
_v_add_co_u32 v4, vcc, v0, 1                       // coord0.1: coord0 += d0*sg0*VW + vc0
v_cmp_lt_u32 s[52:53], v4, s[sgprSizeI]            // coord0 < size0
v_cmp_lt_u32 s[56:57], v1, s[sgprSizeJ]            // coord1 < size1
s_and_b64 s[56:57], s[52:53], s[56:57]             // in0 && in1
_v_add_lshl_u32 v226, v3, v4, 0x1                  // scaleToBpe: accumulate d0 lower and *= bpe into Cin addr
v_cndmask_b32 v226, -1, v226, s[56:57]             // LDD clip if OOB. offset
/* (d1,vc1,d0,vc0)=(7,1,0,2) */
_v_add_co_u32 v4, vcc, v0, 2                       // coord0.1: coord0 += d0*sg0*VW + vc0
v_cmp_lt_u32 s[52:53], v4, s[sgprSizeI]            // coord0 < size0
v_cmp_lt_u32 s[56:57], v1, s[sgprSizeJ]            // coord1 < size1
s_and_b64 s[56:57], s[52:53], s[56:57]             // in0 && in1
_v_add_lshl_u32 v228, v3, v4, 0x1                  // scaleToBpe: accumulate d0 lower and *= bpe into Cin addr
v_cndmask_b32 v228, -1, v228, s[56:57]             // LDD clip if OOB. offset
/* (d1,vc1,d0,vc0)=(7,1,0,3) */
_v_add_co_u32 v4, vcc, v0, 3                       // coord0.1: coord0 += d0*sg0*VW + vc0
v_cmp_lt_u32 s[52:53], v4, s[sgprSizeI]            // coord0 < size0
v_cmp_lt_u32 s[56:57], v1, s[sgprSizeJ]            // coord1 < size1
s_and_b64 s[56:57], s[52:53], s[56:57]             // in0 && in1
_v_add_lshl_u32 v230, v3, v4, 0x1                  // scaleToBpe: accumulate d0 lower and *= bpe into Cin addr
v_cndmask_b32 v230, -1, v230, s[56:57]             // LDD clip if OOB. offset
/* (d1,vc1,d0,vc0)=(7,2,0,0) */
_v_add_co_u32 v1, vcc, v1, 1                       // coord1.1: coord1Vgpr += d1*sg1*VW + vc1

/* Fix for UseInitialStridesCD, emitAddressSetupCode */
_v_add_u32 v2, v2, s[sgprStrideC1J]                // ROWINC- Move cinRowPtr to next row
_v_add_u32 v3, v3, s[sgprStrideD1J]                // Move coutRowPtr to next row
v_cmp_lt_u32 s[52:53], v0, s[sgprSizeI]            // coord0 < size0
v_cmp_lt_u32 s[56:57], v1, s[sgprSizeJ]            // coord1 < size1
s_and_b64 s[56:57], s[52:53], s[56:57]             // in0 && in1
_v_add_lshl_u32 v232, v3, v0, 0x1                  // scaleToBpe: accumulate d0 lower and *= bpe into Cin addr
v_cndmask_b32 v232, -1, v232, s[56:57]             // LDD clip if OOB. offset
/* (d1,vc1,d0,vc0)=(7,2,0,1) */
_v_add_co_u32 v4, vcc, v0, 1                       // coord0.1: coord0 += d0*sg0*VW + vc0
v_cmp_lt_u32 s[52:53], v4, s[sgprSizeI]            // coord0 < size0
v_cmp_lt_u32 s[56:57], v1, s[sgprSizeJ]            // coord1 < size1
s_and_b64 s[56:57], s[52:53], s[56:57]             // in0 && in1
_v_add_lshl_u32 v234, v3, v4, 0x1                  // scaleToBpe: accumulate d0 lower and *= bpe into Cin addr
v_cndmask_b32 v234, -1, v234, s[56:57]             // LDD clip if OOB. offset
/* (d1,vc1,d0,vc0)=(7,2,0,2) */
_v_add_co_u32 v4, vcc, v0, 2                       // coord0.1: coord0 += d0*sg0*VW + vc0
v_cmp_lt_u32 s[52:53], v4, s[sgprSizeI]            // coord0 < size0
v_cmp_lt_u32 s[56:57], v1, s[sgprSizeJ]            // coord1 < size1
s_and_b64 s[56:57], s[52:53], s[56:57]             // in0 && in1
_v_add_lshl_u32 v236, v3, v4, 0x1                  // scaleToBpe: accumulate d0 lower and *= bpe into Cin addr
v_cndmask_b32 v236, -1, v236, s[56:57]             // LDD clip if OOB. offset
/* (d1,vc1,d0,vc0)=(7,2,0,3) */
_v_add_co_u32 v4, vcc, v0, 3                       // coord0.1: coord0 += d0*sg0*VW + vc0
v_cmp_lt_u32 s[52:53], v4, s[sgprSizeI]            // coord0 < size0
v_cmp_lt_u32 s[56:57], v1, s[sgprSizeJ]            // coord1 < size1
s_and_b64 s[56:57], s[52:53], s[56:57]             // in0 && in1
_v_add_lshl_u32 v238, v3, v4, 0x1                  // scaleToBpe: accumulate d0 lower and *= bpe into Cin addr
v_cndmask_b32 v238, -1, v238, s[56:57]             // LDD clip if OOB. offset
/* (d1,vc1,d0,vc0)=(7,3,0,0) */
_v_add_co_u32 v1, vcc, v1, 1                       // coord1.1: coord1Vgpr += d1*sg1*VW + vc1

/* Fix for UseInitialStridesCD, emitAddressSetupCode */
_v_add_u32 v2, v2, s[sgprStrideC1J]                // ROWINC- Move cinRowPtr to next row
_v_add_u32 v3, v3, s[sgprStrideD1J]                // Move coutRowPtr to next row
v_cmp_lt_u32 s[52:53], v0, s[sgprSizeI]            // coord0 < size0
v_cmp_lt_u32 s[56:57], v1, s[sgprSizeJ]            // coord1 < size1
s_and_b64 s[56:57], s[52:53], s[56:57]             // in0 && in1
_v_add_lshl_u32 v240, v3, v0, 0x1                  // scaleToBpe: accumulate d0 lower and *= bpe into Cin addr
v_cndmask_b32 v240, -1, v240, s[56:57]             // LDD clip if OOB. offset
/* (d1,vc1,d0,vc0)=(7,3,0,1) */
_v_add_co_u32 v4, vcc, v0, 1                       // coord0.1: coord0 += d0*sg0*VW + vc0
v_cmp_lt_u32 s[52:53], v4, s[sgprSizeI]            // coord0 < size0
v_cmp_lt_u32 s[56:57], v1, s[sgprSizeJ]            // coord1 < size1
s_and_b64 s[56:57], s[52:53], s[56:57]             // in0 && in1
_v_add_lshl_u32 v242, v3, v4, 0x1                  // scaleToBpe: accumulate d0 lower and *= bpe into Cin addr
v_cndmask_b32 v242, -1, v242, s[56:57]             // LDD clip if OOB. offset
/* (d1,vc1,d0,vc0)=(7,3,0,2) */
_v_add_co_u32 v4, vcc, v0, 2                       // coord0.1: coord0 += d0*sg0*VW + vc0
v_cmp_lt_u32 s[52:53], v4, s[sgprSizeI]            // coord0 < size0
v_cmp_lt_u32 s[56:57], v1, s[sgprSizeJ]            // coord1 < size1
s_and_b64 s[56:57], s[52:53], s[56:57]             // in0 && in1
_v_add_lshl_u32 v244, v3, v4, 0x1                  // scaleToBpe: accumulate d0 lower and *= bpe into Cin addr
v_cndmask_b32 v244, -1, v244, s[56:57]             // LDD clip if OOB. offset
/* (d1,vc1,d0,vc0)=(7,3,0,3) */
_v_add_co_u32 v4, vcc, v0, 3                       // coord0.1: coord0 += d0*sg0*VW + vc0
v_cmp_lt_u32 s[52:53], v4, s[sgprSizeI]            // coord0 < size0
v_cmp_lt_u32 s[56:57], v1, s[sgprSizeJ]            // coord1 < size1
s_and_b64 s[56:57], s[52:53], s[56:57]             // in0 && in1
_v_add_lshl_u32 v246, v3, v4, 0x1                  // scaleToBpe: accumulate d0 lower and *= bpe into Cin addr
v_cndmask_b32 v246, -1, v246, s[56:57]             // LDD clip if OOB. offset
/* (d1,vc1,d0,vc0)=(7,4,0,0) */
_v_add_co_u32 v1, vcc, v1, 1                       // coord1.1: coord1Vgpr += d1*sg1*VW + vc1

/* Fix for UseInitialStridesCD, emitAddressSetupCode */
_v_add_u32 v2, v2, s[sgprStrideC1J]                // ROWINC- Move cinRowPtr to next row
_v_add_u32 v3, v3, s[sgprStrideD1J]                // Move coutRowPtr to next row
v_cmp_lt_u32 s[52:53], v0, s[sgprSizeI]            // coord0 < size0
v_cmp_lt_u32 s[56:57], v1, s[sgprSizeJ]            // coord1 < size1
s_and_b64 s[56:57], s[52:53], s[56:57]             // in0 && in1
_v_add_lshl_u32 v248, v3, v0, 0x1                  // scaleToBpe: accumulate d0 lower and *= bpe into Cin addr
v_cndmask_b32 v248, -1, v248, s[56:57]             // LDD clip if OOB. offset
/* (d1,vc1,d0,vc0)=(7,4,0,1) */
_v_add_co_u32 v4, vcc, v0, 1                       // coord0.1: coord0 += d0*sg0*VW + vc0
v_cmp_lt_u32 s[52:53], v4, s[sgprSizeI]            // coord0 < size0
v_cmp_lt_u32 s[56:57], v1, s[sgprSizeJ]            // coord1 < size1
s_and_b64 s[56:57], s[52:53], s[56:57]             // in0 && in1
_v_add_lshl_u32 v250, v3, v4, 0x1                  // scaleToBpe: accumulate d0 lower and *= bpe into Cin addr
v_cndmask_b32 v250, -1, v250, s[56:57]             // LDD clip if OOB. offset
/* (d1,vc1,d0,vc0)=(7,4,0,2) */
_v_add_co_u32 v4, vcc, v0, 2                       // coord0.1: coord0 += d0*sg0*VW + vc0
	;; [unrolled: 7-line block ×3, first 2 shown]
v_cmp_lt_u32 s[52:53], v4, s[sgprSizeI]            // coord0 < size0
v_cmp_lt_u32 s[56:57], v1, s[sgprSizeJ]            // coord1 < size1
s_and_b64 s[56:57], s[52:53], s[56:57]             // in0 && in1
_v_add_lshl_u32 v254, v3, v4, 0x1                  // scaleToBpe: accumulate d0 lower and *= bpe into Cin addr
v_cndmask_b32 v254, -1, v254, s[56:57]             // LDD clip if OOB. offset
v_accvgpr_read_b32 v[vgprValuC+11], acc107 // copy acc to vreg[122]
v_accvgpr_read_b32 v[vgprValuC+13], acc111 // copy acc to vreg[123]
v_accvgpr_read_b32 v[vgprValuC+15], acc115 // copy acc to vreg[124]
v_accvgpr_read_b32 v[vgprValuC+17], acc119 // copy acc to vreg[125]
v_accvgpr_read_b32 v[vgprValuC+19], acc123 // copy acc to vreg[126]
v_accvgpr_read_b32 v[vgprValuC+21], acc127 // copy acc to vreg[127]
v_accvgpr_read_b32 v[vgprValuC+23], acc128 // copy acc to vreg[128]
v_accvgpr_read_b32 v[vgprValuC+25], acc132 // copy acc to vreg[129]
v_accvgpr_read_b32 v[vgprValuC+27], acc136 // copy acc to vreg[130]
v_accvgpr_read_b32 v[vgprValuC+29], acc140 // copy acc to vreg[131]
v_accvgpr_read_b32 v[vgprValuC+31], acc144 // copy acc to vreg[132]
v_accvgpr_read_b32 v[vgprValuC+33], acc148 // copy acc to vreg[133]
v_accvgpr_read_b32 v[vgprValuC+35], acc152 // copy acc to vreg[134]
v_accvgpr_read_b32 v[vgprValuC+37], acc156 // copy acc to vreg[135]
v_accvgpr_read_b32 v[vgprValuC+39], acc129 // copy acc to vreg[136]
v_accvgpr_read_b32 v[vgprValuC+41], acc133 // copy acc to vreg[137]
v_accvgpr_read_b32 v[vgprValuC+43], acc137 // copy acc to vreg[138]
v_accvgpr_read_b32 v[vgprValuC+45], acc141 // copy acc to vreg[139]
v_accvgpr_read_b32 v[vgprValuC+47], acc145 // copy acc to vreg[140]
v_accvgpr_read_b32 v[vgprValuC+49], acc149 // copy acc to vreg[141]
v_accvgpr_read_b32 v[vgprValuC+51], acc153 // copy acc to vreg[142]
v_accvgpr_read_b32 v[vgprValuC+53], acc157 // copy acc to vreg[143]
v_accvgpr_read_b32 v[vgprValuC+55], acc130 // copy acc to vreg[144]
v_accvgpr_read_b32 v[vgprValuC+57], acc134 // copy acc to vreg[145]
v_accvgpr_read_b32 v[vgprValuC+59], acc138 // copy acc to vreg[146]
v_accvgpr_read_b32 v[vgprValuC+61], acc142 // copy acc to vreg[147]
v_accvgpr_read_b32 v[vgprValuC+63], acc146 // copy acc to vreg[148]
v_accvgpr_read_b32 v[vgprValuC+65], acc150 // copy acc to vreg[149]
v_accvgpr_read_b32 v[vgprValuC+67], acc154 // copy acc to vreg[150]
v_accvgpr_read_b32 v[vgprValuC+69], acc158 // copy acc to vreg[151]
v_accvgpr_read_b32 v[vgprValuC+71], acc131 // copy acc to vreg[152]
v_accvgpr_read_b32 v[vgprValuC+73], acc135 // copy acc to vreg[153]
v_accvgpr_read_b32 v[vgprValuC+75], acc139 // copy acc to vreg[154]
v_accvgpr_read_b32 v[vgprValuC+77], acc143 // copy acc to vreg[155]
v_accvgpr_read_b32 v[vgprValuC+79], acc147 // copy acc to vreg[156]
v_accvgpr_read_b32 v[vgprValuC+81], acc151 // copy acc to vreg[157]
v_accvgpr_read_b32 v[vgprValuC+83], acc155 // copy acc to vreg[158]
v_accvgpr_read_b32 v[vgprValuC+85], acc159 // copy acc to vreg[159]
v_accvgpr_read_b32 v[vgprValuC+87], acc160 // copy acc to vreg[160]
v_accvgpr_read_b32 v[vgprValuC+89], acc164 // copy acc to vreg[161]
v_accvgpr_read_b32 v[vgprValuC+91], acc168 // copy acc to vreg[162]
v_accvgpr_read_b32 v[vgprValuC+93], acc172 // copy acc to vreg[163]
v_accvgpr_read_b32 v[vgprValuC+95], acc176 // copy acc to vreg[164]
v_accvgpr_read_b32 v[vgprValuC+97], acc180 // copy acc to vreg[165]
v_accvgpr_read_b32 v[vgprValuC+99], acc184 // copy acc to vreg[166]
v_accvgpr_read_b32 v[vgprValuC+101], acc188 // copy acc to vreg[167]
v_accvgpr_read_b32 v[vgprValuC+103], acc161 // copy acc to vreg[168]
v_accvgpr_read_b32 v[vgprValuC+105], acc165 // copy acc to vreg[169]
v_accvgpr_read_b32 v[vgprValuC+107], acc169 // copy acc to vreg[170]
v_accvgpr_read_b32 v[vgprValuC+109], acc173 // copy acc to vreg[171]
v_accvgpr_read_b32 v[vgprValuC+111], acc177 // copy acc to vreg[172]
v_accvgpr_read_b32 v[vgprValuC+113], acc181 // copy acc to vreg[173]
v_accvgpr_read_b32 v[vgprValuC+115], acc185 // copy acc to vreg[174]
v_accvgpr_read_b32 v[vgprValuC+117], acc189 // copy acc to vreg[175]
v_accvgpr_read_b32 v[vgprValuC+119], acc162 // copy acc to vreg[176]
v_accvgpr_read_b32 v[vgprValuC+121], acc166 // copy acc to vreg[177]
v_accvgpr_read_b32 v[vgprValuC+123], acc170 // copy acc to vreg[178]
v_accvgpr_read_b32 v[vgprValuC+125], acc174 // copy acc to vreg[179]
v_accvgpr_read_b32 v[vgprValuC+127], acc178 // copy acc to vreg[180]
v_accvgpr_read_b32 v[vgprValuC+129], acc182 // copy acc to vreg[181]
v_accvgpr_read_b32 v[vgprValuC+131], acc186 // copy acc to vreg[182]
v_accvgpr_read_b32 v[vgprValuC+133], acc190 // copy acc to vreg[183]
v_accvgpr_read_b32 v[vgprValuC+135], acc163 // copy acc to vreg[184]
v_accvgpr_read_b32 v[vgprValuC+137], acc167 // copy acc to vreg[185]
v_accvgpr_read_b32 v[vgprValuC+139], acc171 // copy acc to vreg[186]
v_accvgpr_read_b32 v[vgprValuC+141], acc175 // copy acc to vreg[187]
v_accvgpr_read_b32 v[vgprValuC+143], acc179 // copy acc to vreg[188]
v_accvgpr_read_b32 v[vgprValuC+145], acc183 // copy acc to vreg[189]
v_accvgpr_read_b32 v[vgprValuC+147], acc187 // copy acc to vreg[190]
v_accvgpr_read_b32 v[vgprValuC+149], acc191 // copy acc to vreg[191]
v_accvgpr_read_b32 v[vgprValuC+151], acc192 // copy acc to vreg[192]
v_accvgpr_read_b32 v[vgprValuC+153], acc196 // copy acc to vreg[193]
v_accvgpr_read_b32 v[vgprValuC+155], acc200 // copy acc to vreg[194]
v_accvgpr_read_b32 v[vgprValuC+157], acc204 // copy acc to vreg[195]
v_accvgpr_read_b32 v[vgprValuC+159], acc208 // copy acc to vreg[196]
v_accvgpr_read_b32 v[vgprValuC+161], acc212 // copy acc to vreg[197]
v_accvgpr_read_b32 v[vgprValuC+163], acc216 // copy acc to vreg[198]
v_accvgpr_read_b32 v[vgprValuC+165], acc220 // copy acc to vreg[199]
v_accvgpr_read_b32 v[vgprValuC+167], acc193 // copy acc to vreg[200]
v_accvgpr_read_b32 v[vgprValuC+169], acc197 // copy acc to vreg[201]
v_accvgpr_read_b32 v[vgprValuC+171], acc201 // copy acc to vreg[202]
v_accvgpr_read_b32 v[vgprValuC+173], acc205 // copy acc to vreg[203]
v_accvgpr_read_b32 v[vgprValuC+175], acc209 // copy acc to vreg[204]
v_accvgpr_read_b32 v[vgprValuC+177], acc213 // copy acc to vreg[205]
v_accvgpr_read_b32 v[vgprValuC+179], acc217 // copy acc to vreg[206]
v_accvgpr_read_b32 v[vgprValuC+181], acc221 // copy acc to vreg[207]
v_accvgpr_read_b32 v[vgprValuC+183], acc194 // copy acc to vreg[208]
v_accvgpr_read_b32 v[vgprValuC+185], acc198 // copy acc to vreg[209]
v_accvgpr_read_b32 v[vgprValuC+187], acc202 // copy acc to vreg[210]
v_accvgpr_read_b32 v[vgprValuC+189], acc206 // copy acc to vreg[211]
v_accvgpr_read_b32 v[vgprValuC+191], acc210 // copy acc to vreg[212]
v_accvgpr_read_b32 v[vgprValuC+193], acc214 // copy acc to vreg[213]
v_accvgpr_read_b32 v[vgprValuC+195], acc218 // copy acc to vreg[214]
v_accvgpr_read_b32 v[vgprValuC+197], acc222 // copy acc to vreg[215]
v_accvgpr_read_b32 v[vgprValuC+199], acc195 // copy acc to vreg[216]
v_accvgpr_read_b32 v[vgprValuC+201], acc199 // copy acc to vreg[217]
v_accvgpr_read_b32 v[vgprValuC+203], acc203 // copy acc to vreg[218]
v_accvgpr_read_b32 v[vgprValuC+205], acc207 // copy acc to vreg[219]
v_accvgpr_read_b32 v[vgprValuC+207], acc211 // copy acc to vreg[220]
v_accvgpr_read_b32 v[vgprValuC+209], acc215 // copy acc to vreg[221]
v_accvgpr_read_b32 v[vgprValuC+211], acc219 // copy acc to vreg[222]
v_accvgpr_read_b32 v[vgprValuC+213], acc223 // copy acc to vreg[223]
v_accvgpr_read_b32 v[vgprValuC+215], acc224 // copy acc to vreg[224]
v_accvgpr_read_b32 v[vgprValuC+217], acc228 // copy acc to vreg[225]
v_accvgpr_read_b32 v[vgprValuC+221], acc232 // copy acc to vreg[226]
v_accvgpr_read_b32 v[vgprValuC+223], acc236 // copy acc to vreg[227]
v_accvgpr_read_b32 v[vgprValuC+225], acc240 // copy acc to vreg[228]
v_accvgpr_read_b32 v[vgprValuC+227], acc244 // copy acc to vreg[229]
v_accvgpr_read_b32 v[vgprValuC+229], acc248 // copy acc to vreg[230]
v_accvgpr_read_b32 v[vgprValuC+231], acc252 // copy acc to vreg[231]
v_accvgpr_read_b32 v[vgprValuC+233], acc225 // copy acc to vreg[232]
v_accvgpr_read_b32 v[vgprValuC+235], acc229 // copy acc to vreg[233]
v_accvgpr_read_b32 v[vgprValuC+237], acc233 // copy acc to vreg[234]
v_accvgpr_read_b32 v[vgprValuC+239], acc237 // copy acc to vreg[235]
v_accvgpr_read_b32 v[vgprValuC+241], acc241 // copy acc to vreg[236]
v_accvgpr_read_b32 v[vgprValuC+243], acc245 // copy acc to vreg[237]
v_accvgpr_read_b32 v[vgprValuC+245], acc249 // copy acc to vreg[238]
v_accvgpr_read_b32 v[vgprValuC+247], acc253 // copy acc to vreg[239]
v_accvgpr_read_b32 v[vgprValuC+249], acc226 // copy acc to vreg[240]
v_accvgpr_read_b32 v[vgprValuC+251], acc230 // copy acc to vreg[241]
v_accvgpr_read_b32 v[vgprValuC+253], acc234 // copy acc to vreg[242]
v_accvgpr_read_b32 v[vgprValuC+255], acc238 // copy acc to vreg[243]
s_nop 1                                            // 2 wait states required before reading vgpr

/* rC *= alpha batchElements=[(3, 0, 6, 2), (3, 0, 6, 3), (3, 0, 7, 0), (3, 0, 7, 1), (3, 0, 7, 2), (3, 0, 7, 3), (4, 0, 0, 0), (4, 0, 0, 1), (4, 0, 0, 2), (4, 0, 0, 3), (4, 0, 1, 0), (4, 0, 1, 1), (4, 0, 1, 2), (4, 0, 1, 3), (4, 0, 2, 0), (4, 0, 2, 1), (4, 0, 2, 2), (4, 0, 2, 3), (4, 0, 3, 0), (4, 0, 3, 1), (4, 0, 3, 2), (4, 0, 3, 3), (4, 0, 4, 0), (4, 0, 4, 1), (4, 0, 4, 2), (4, 0, 4, 3), (4, 0, 5, 0), (4, 0, 5, 1), (4, 0, 5, 2), (4, 0, 5, 3), (4, 0, 6, 0), (4, 0, 6, 1), (4, 0, 6, 2), (4, 0, 6, 3), (4, 0, 7, 0), (4, 0, 7, 1), (4, 0, 7, 2), (4, 0, 7, 3), (5, 0, 0, 0), (5, 0, 0, 1), (5, 0, 0, 2), (5, 0, 0, 3), (5, 0, 1, 0), (5, 0, 1, 1), (5, 0, 1, 2), (5, 0, 1, 3), (5, 0, 2, 0), (5, 0, 2, 1), (5, 0, 2, 2), (5, 0, 2, 3), (5, 0, 3, 0), (5, 0, 3, 1), (5, 0, 3, 2), (5, 0, 3, 3), (5, 0, 4, 0), (5, 0, 4, 1), (5, 0, 4, 2), (5, 0, 4, 3), (5, 0, 5, 0), (5, 0, 5, 1), (5, 0, 5, 2), (5, 0, 5, 3), (5, 0, 6, 0), (5, 0, 6, 1), (5, 0, 6, 2), (5, 0, 6, 3), (5, 0, 7, 0), (5, 0, 7, 1), (5, 0, 7, 2), (5, 0, 7, 3), (6, 0, 0, 0), (6, 0, 0, 1), (6, 0, 0, 2), (6, 0, 0, 3), (6, 0, 1, 0), (6, 0, 1, 1), (6, 0, 1, 2), (6, 0, 1, 3), (6, 0, 2, 0), (6, 0, 2, 1), (6, 0, 2, 2), (6, 0, 2, 3), (6, 0, 3, 0), (6, 0, 3, 1), (6, 0, 3, 2), (6, 0, 3, 3), (6, 0, 4, 0), (6, 0, 4, 1), (6, 0, 4, 2), (6, 0, 4, 3), (6, 0, 5, 0), (6, 0, 5, 1), (6, 0, 5, 2), (6, 0, 5, 3), (6, 0, 6, 0), (6, 0, 6, 1), (6, 0, 6, 2), (6, 0, 6, 3), (6, 0, 7, 0), (6, 0, 7, 1), (6, 0, 7, 2), (6, 0, 7, 3), (7, 0, 0, 0), (7, 0, 0, 1), (7, 0, 0, 2), (7, 0, 0, 3), (7, 0, 1, 0), (7, 0, 1, 1), (7, 0, 1, 2), (7, 0, 1, 3), (7, 0, 2, 0), (7, 0, 2, 1), (7, 0, 2, 2), (7, 0, 2, 3), (7, 0, 3, 0), (7, 0, 3, 1), (7, 0, 3, 2), (7, 0, 3, 3), (7, 0, 4, 0), (7, 0, 4, 1), (7, 0, 4, 2), (7, 0, 4, 3)] */
v_mul_f32 v[vgprValuC+11], s[sgprAlpha], v[vgprValuC+11] // *= alpha
v_mul_f32 v[vgprValuC+13], s[sgprAlpha], v[vgprValuC+13] // *= alpha
	;; [unrolled: 1-line block ×122, first 2 shown]

/* apply mask, calc new C and issue writes */
v_mov_b32 v7, 0xffff0000                           // mask for pack two bfloat16 element to 32bit
v_mov_b32 v8, 0x7fff0000                           // fp32 Nan
v_mov_b32 v9, 0x7fff                               // rounding bias for bfloat16
v_cmp_u_f32 s[52:53], v[vgprValuC+11], v[vgprValuC+11] // check Nan
v_bfe_u32 v6, v[vgprValuC+11], 16, 1               // Non-Nan case: store lsb of bf16
v_add3_u32 v6, v[vgprValuC+11], v6, v9             // Non-Nan case: add lsb and the increment for rounding
v_cndmask_b32 v[vgprValuC+11], v6, v8, s[52:53]    // 
v_lshrrev_b32 v[vgprValuC+11], 16, v[vgprValuC+11] // convert C to bf16
_buffer_store_b16 v11, v10, s[sgprSrdD:sgprSrdD+3], 0, offen, offset:0,  sc0 sc1 // store D
v_cmp_u_f32 s[52:53], v[vgprValuC+13], v[vgprValuC+13] // check Nan
v_bfe_u32 v6, v[vgprValuC+13], 16, 1               // Non-Nan case: store lsb of bf16
v_add3_u32 v6, v[vgprValuC+13], v6, v9             // Non-Nan case: add lsb and the increment for rounding
v_cndmask_b32 v[vgprValuC+13], v6, v8, s[52:53]    // 
v_lshrrev_b32 v[vgprValuC+13], 16, v[vgprValuC+13] // convert C to bf16
_buffer_store_b16 v13, v12, s[sgprSrdD:sgprSrdD+3], 0, offen, offset:0,  sc0 sc1 // store D
	;; [unrolled: 6-line block ×45, first 2 shown]
v_cmp_u_f32 s[52:53], v[vgprValuC+101], v[vgprValuC+101] // check Nan
v_bfe_u32 v6, v[vgprValuC+101], 16, 1              // Non-Nan case: store lsb of bf16
v_add3_u32 v6, v[vgprValuC+101], v6, v9            // Non-Nan case: add lsb and the increment for rounding
v_cndmask_b32 v[vgprValuC+101], v6, v8, s[52:53]   // 
v_lshrrev_b32 v[vgprValuC+101], 16, v[vgprValuC+101] // convert C to bf16
_buffer_store_b16 v101, v100, s[sgprSrdD:sgprSrdD+3], 0, offen, offset:0,  sc0 sc1 // store D
v_cmp_u_f32 s[52:53], v[vgprValuC+103], v[vgprValuC+103] // check Nan
v_bfe_u32 v6, v[vgprValuC+103], 16, 1              // Non-Nan case: store lsb of bf16
v_add3_u32 v6, v[vgprValuC+103], v6, v9            // Non-Nan case: add lsb and the increment for rounding
v_cndmask_b32 v[vgprValuC+103], v6, v8, s[52:53]   // 
v_lshrrev_b32 v[vgprValuC+103], 16, v[vgprValuC+103] // convert C to bf16
_buffer_store_b16 v103, v102, s[sgprSrdD:sgprSrdD+3], 0, offen, offset:0,  sc0 sc1 // store D
	;; [unrolled: 6-line block ×77, first 2 shown]
s_nop 0                                            // 1 wait state required when next inst writes vgprs held by previous dwordx4 store inst
/* optSingleColVgpr=0 optSharedColVgpr=0 optSGPRUsage=BufferLoad_Edge_Mask optSrdIncForRow=0 */

/******************************************/
/* Global Write Alpha Edge Batch #2 (d1,d0,vc1,vc0) = */
/*    (7,0,5,0:vw1); (7,0,5,1:vw1); (7,0,5,2:vw1); (7,0,5,3:vw1); (7,0,6,0:vw1); (7,0,6,1:vw1); (7,0,6,2:vw1); (7,0,6,3:vw1); (7,0,7,0:vw1); (7,0,7,1:vw1); (7,0,7,2:vw1); (7,0,7,3:vw1) */
/******************************************/

/* calc coords, apply mask, and issue loads (if necessary) */
/* (d1,vc1,d0,vc0)=(7,5,0,0) */
_v_add_co_u32 v1, vcc, v1, 1                       // coord1.1: coord1Vgpr += d1*sg1*VW + vc1

/* Fix for UseInitialStridesCD, emitAddressSetupCode */
_v_add_u32 v2, v2, s[sgprStrideC1J]                // ROWINC- Move cinRowPtr to next row
_v_add_u32 v3, v3, s[sgprStrideD1J]                // Move coutRowPtr to next row
v_cmp_lt_u32 s[52:53], v0, s[sgprSizeI]            // coord0 < size0
v_cmp_lt_u32 s[56:57], v1, s[sgprSizeJ]            // coord1 < size1
s_and_b64 s[56:57], s[52:53], s[56:57]             // in0 && in1
_v_add_lshl_u32 v10, v3, v0, 0x1                   // scaleToBpe: accumulate d0 lower and *= bpe into Cin addr
v_cndmask_b32 v10, -1, v10, s[56:57]               // LDD clip if OOB. offset
/* (d1,vc1,d0,vc0)=(7,5,0,1) */
_v_add_co_u32 v4, vcc, v0, 1                       // coord0.1: coord0 += d0*sg0*VW + vc0
v_cmp_lt_u32 s[52:53], v4, s[sgprSizeI]            // coord0 < size0
v_cmp_lt_u32 s[56:57], v1, s[sgprSizeJ]            // coord1 < size1
s_and_b64 s[56:57], s[52:53], s[56:57]             // in0 && in1
_v_add_lshl_u32 v12, v3, v4, 0x1                   // scaleToBpe: accumulate d0 lower and *= bpe into Cin addr
v_cndmask_b32 v12, -1, v12, s[56:57]               // LDD clip if OOB. offset
/* (d1,vc1,d0,vc0)=(7,5,0,2) */
_v_add_co_u32 v4, vcc, v0, 2                       // coord0.1: coord0 += d0*sg0*VW + vc0
v_cmp_lt_u32 s[52:53], v4, s[sgprSizeI]            // coord0 < size0
v_cmp_lt_u32 s[56:57], v1, s[sgprSizeJ]            // coord1 < size1
s_and_b64 s[56:57], s[52:53], s[56:57]             // in0 && in1
_v_add_lshl_u32 v14, v3, v4, 0x1                   // scaleToBpe: accumulate d0 lower and *= bpe into Cin addr
v_cndmask_b32 v14, -1, v14, s[56:57]               // LDD clip if OOB. offset
/* (d1,vc1,d0,vc0)=(7,5,0,3) */
_v_add_co_u32 v4, vcc, v0, 3                       // coord0.1: coord0 += d0*sg0*VW + vc0
v_cmp_lt_u32 s[52:53], v4, s[sgprSizeI]            // coord0 < size0
v_cmp_lt_u32 s[56:57], v1, s[sgprSizeJ]            // coord1 < size1
s_and_b64 s[56:57], s[52:53], s[56:57]             // in0 && in1
_v_add_lshl_u32 v16, v3, v4, 0x1                   // scaleToBpe: accumulate d0 lower and *= bpe into Cin addr
v_cndmask_b32 v16, -1, v16, s[56:57]               // LDD clip if OOB. offset
/* (d1,vc1,d0,vc0)=(7,6,0,0) */
_v_add_co_u32 v1, vcc, v1, 1                       // coord1.1: coord1Vgpr += d1*sg1*VW + vc1

/* Fix for UseInitialStridesCD, emitAddressSetupCode */
_v_add_u32 v2, v2, s[sgprStrideC1J]                // ROWINC- Move cinRowPtr to next row
_v_add_u32 v3, v3, s[sgprStrideD1J]                // Move coutRowPtr to next row
v_cmp_lt_u32 s[52:53], v0, s[sgprSizeI]            // coord0 < size0
v_cmp_lt_u32 s[56:57], v1, s[sgprSizeJ]            // coord1 < size1
s_and_b64 s[56:57], s[52:53], s[56:57]             // in0 && in1
_v_add_lshl_u32 v18, v3, v0, 0x1                   // scaleToBpe: accumulate d0 lower and *= bpe into Cin addr
v_cndmask_b32 v18, -1, v18, s[56:57]               // LDD clip if OOB. offset
/* (d1,vc1,d0,vc0)=(7,6,0,1) */
_v_add_co_u32 v4, vcc, v0, 1                       // coord0.1: coord0 += d0*sg0*VW + vc0
v_cmp_lt_u32 s[52:53], v4, s[sgprSizeI]            // coord0 < size0
v_cmp_lt_u32 s[56:57], v1, s[sgprSizeJ]            // coord1 < size1
s_and_b64 s[56:57], s[52:53], s[56:57]             // in0 && in1
_v_add_lshl_u32 v20, v3, v4, 0x1                   // scaleToBpe: accumulate d0 lower and *= bpe into Cin addr
v_cndmask_b32 v20, -1, v20, s[56:57]               // LDD clip if OOB. offset
/* (d1,vc1,d0,vc0)=(7,6,0,2) */
_v_add_co_u32 v4, vcc, v0, 2                       // coord0.1: coord0 += d0*sg0*VW + vc0
v_cmp_lt_u32 s[52:53], v4, s[sgprSizeI]            // coord0 < size0
v_cmp_lt_u32 s[56:57], v1, s[sgprSizeJ]            // coord1 < size1
s_and_b64 s[56:57], s[52:53], s[56:57]             // in0 && in1
_v_add_lshl_u32 v22, v3, v4, 0x1                   // scaleToBpe: accumulate d0 lower and *= bpe into Cin addr
v_cndmask_b32 v22, -1, v22, s[56:57]               // LDD clip if OOB. offset
/* (d1,vc1,d0,vc0)=(7,6,0,3) */
_v_add_co_u32 v4, vcc, v0, 3                       // coord0.1: coord0 += d0*sg0*VW + vc0
v_cmp_lt_u32 s[52:53], v4, s[sgprSizeI]            // coord0 < size0
v_cmp_lt_u32 s[56:57], v1, s[sgprSizeJ]            // coord1 < size1
s_and_b64 s[56:57], s[52:53], s[56:57]             // in0 && in1
_v_add_lshl_u32 v24, v3, v4, 0x1                   // scaleToBpe: accumulate d0 lower and *= bpe into Cin addr
v_cndmask_b32 v24, -1, v24, s[56:57]               // LDD clip if OOB. offset
	;; [unrolled: 32-line block ×3, first 2 shown]
v_accvgpr_read_b32 v[vgprValuC+11], acc242 // copy acc to vreg[244]
v_accvgpr_read_b32 v[vgprValuC+13], acc246 // copy acc to vreg[245]
v_accvgpr_read_b32 v[vgprValuC+15], acc250 // copy acc to vreg[246]
v_accvgpr_read_b32 v[vgprValuC+17], acc254 // copy acc to vreg[247]
v_accvgpr_read_b32 v[vgprValuC+19], acc227 // copy acc to vreg[248]
v_accvgpr_read_b32 v[vgprValuC+21], acc231 // copy acc to vreg[249]
v_accvgpr_read_b32 v[vgprValuC+23], acc235 // copy acc to vreg[250]
v_accvgpr_read_b32 v[vgprValuC+25], acc239 // copy acc to vreg[251]
v_accvgpr_read_b32 v[vgprValuC+27], acc243 // copy acc to vreg[252]
v_accvgpr_read_b32 v[vgprValuC+29], acc247 // copy acc to vreg[253]
v_accvgpr_read_b32 v[vgprValuC+31], acc251 // copy acc to vreg[254]
v_accvgpr_read_b32 v[vgprValuC+33], acc255 // copy acc to vreg[255]
s_nop 1                                            // 2 wait states required before reading vgpr

/* rC *= alpha batchElements=[(7, 0, 5, 0), (7, 0, 5, 1), (7, 0, 5, 2), (7, 0, 5, 3), (7, 0, 6, 0), (7, 0, 6, 1), (7, 0, 6, 2), (7, 0, 6, 3), (7, 0, 7, 0), (7, 0, 7, 1), (7, 0, 7, 2), (7, 0, 7, 3)] */
v_mul_f32 v[vgprValuC+11], s[sgprAlpha], v[vgprValuC+11] // *= alpha
v_mul_f32 v[vgprValuC+13], s[sgprAlpha], v[vgprValuC+13] // *= alpha
	;; [unrolled: 1-line block ×12, first 2 shown]

/* apply mask, calc new C and issue writes */
v_mov_b32 v7, 0xffff0000                           // mask for pack two bfloat16 element to 32bit
v_mov_b32 v8, 0x7fff0000                           // fp32 Nan
v_mov_b32 v9, 0x7fff                               // rounding bias for bfloat16
v_cmp_u_f32 s[52:53], v[vgprValuC+11], v[vgprValuC+11] // check Nan
v_bfe_u32 v6, v[vgprValuC+11], 16, 1               // Non-Nan case: store lsb of bf16
v_add3_u32 v6, v[vgprValuC+11], v6, v9             // Non-Nan case: add lsb and the increment for rounding
v_cndmask_b32 v[vgprValuC+11], v6, v8, s[52:53]    // 
v_lshrrev_b32 v[vgprValuC+11], 16, v[vgprValuC+11] // convert C to bf16
_buffer_store_b16 v11, v10, s[sgprSrdD:sgprSrdD+3], 0, offen, offset:0,  sc0 sc1 // store D
v_cmp_u_f32 s[52:53], v[vgprValuC+13], v[vgprValuC+13] // check Nan
v_bfe_u32 v6, v[vgprValuC+13], 16, 1               // Non-Nan case: store lsb of bf16
v_add3_u32 v6, v[vgprValuC+13], v6, v9             // Non-Nan case: add lsb and the increment for rounding
v_cndmask_b32 v[vgprValuC+13], v6, v8, s[52:53]    // 
v_lshrrev_b32 v[vgprValuC+13], 16, v[vgprValuC+13] // convert C to bf16
_buffer_store_b16 v13, v12, s[sgprSrdD:sgprSrdD+3], 0, offen, offset:0,  sc0 sc1 // store D
	;; [unrolled: 6-line block ×12, first 2 shown]
s_nop 0                                            // 1 wait state required when next inst writes vgprs held by previous dwordx4 store inst
s_branch label_GW_End_58                           // jump to end
GW_Beta_59:
s_and_b32 s52, 255, s[sgprSizeI]                   // s52 = s[sgprSizeI] % 256
s_add_u32 s53, -0x1, s[sgprNumWorkGroups0]         // 
s_cmp_ge_u32 s[sgprWorkGroup0], s53                // wg0 >= nwg0-1 ?
s_cselect_b32 s52, s52, 0                          // set rMT0
s_cmpk_gt_u32 s52, 0x0                             // rMT0 > 0
s_cbranch_scc1 GW_B1_E1_57                         // jump if edges required
s_and_b32 s52, 255, s[sgprSizeJ]                   // s52 = s[sgprSizeJ] % 256
s_add_u32 s53, -0x1, s[sgprNumWorkGroups1]         // 
s_cmp_ge_u32 s[sgprWorkGroup1], s53                // wg1 >= nwg1-1
s_cselect_b32 s52, s52, 0                          // set rMT1
s_cmpk_gt_u32 s52, 0x0                             // rMT1 > 0
s_cbranch_scc1 GW_B1_E1_57                         // jump if edges required
GW_B1_E0_54:

/* edge=0, allocate 2 sgpr. perBatchTmpS=2 perBatchMaskS=0 perElementMaskS=0 elementsPerBatch=40 */
/* optSingleColVgpr=1 optSharedColVgpr=0 optSGPRUsage=BufferLoad_Mask optSrdIncForRow=1 */

/******************************************/
/* Global Write Alpha Beta Batch #0 (d1,d0,vc1,vc0) = */
/*    (0,0,0,0:vw4); (0,0,1,0:vw4); (0,0,2,0:vw4); (0,0,3,0:vw4); (0,0,4,0:vw4); (0,0,5,0:vw4); (0,0,6,0:vw4); (0,0,7,0:vw4); (1,0,0,0:vw4); (1,0,1,0:vw4); (1,0,2,0:vw4); (1,0,3,0:vw4); (1,0,4,0:vw4); (1,0,5,0:vw4); (1,0,6,0:vw4); (1,0,7,0:vw4); (2,0,0,0:vw4); (2,0,1,0:vw4); (2,0,2,0:vw4); (2,0,3,0:vw4); (2,0,4,0:vw4); (2,0,5,0:vw4); (2,0,6,0:vw4); (2,0,7,0:vw4); (3,0,0,0:vw4); (3,0,1,0:vw4); (3,0,2,0:vw4); (3,0,3,0:vw4); (3,0,4,0:vw4); (3,0,5,0:vw4); (3,0,6,0:vw4); (3,0,7,0:vw4); (4,0,0,0:vw4); (4,0,1,0:vw4); (4,0,2,0:vw4); (4,0,3,0:vw4); (4,0,4,0:vw4); (4,0,5,0:vw4); (4,0,6,0:vw4); (4,0,7,0:vw4) */
/******************************************/

/* calc coords, apply mask, and issue loads (if necessary) */
/* (d1,vc1,d0,vc0)=(0,0,0,0) */
_v_add_lshl_u32 v11, v2, v0, 0x1                   // optSingleColVgpr scaleToBpe: sharedAddrVgpr <- cinRowPtr + coord0, scaled by BPE. BSHERE:coord0=0, coord0Vgpr=0
_buffer_load_b64 v[12:13], v11, s[sgprSrdC:sgprSrdC+3], 0, offen offset:0,  sc0 sc1 // load C for beta calc
/* (d1,vc1,d0,vc0)=(0,1,0,0) */
s_lshl_b32  s34, s[sgprStrideC1J], 1               // incToNextRow: Scale by BPE
s_add_u32  s[sgprSrdC+0], s[sgprSrdC+0], s34       // incToNextRow: gra SRD += inc(lower)
s_addc_u32  s[sgprSrdC+1], s[sgprSrdC+1], 0        // incToNextRow: gra SRD += inc(upper)
_buffer_load_b64 v[14:15], v11, s[sgprSrdC:sgprSrdC+3], 0, offen offset:0,  sc0 sc1 // load C for beta calc
/* (d1,vc1,d0,vc0)=(0,2,0,0) */
s_lshl_b32  s34, s[sgprStrideC1J], 1               // incToNextRow: Scale by BPE
s_add_u32  s[sgprSrdC+0], s[sgprSrdC+0], s34       // incToNextRow: gra SRD += inc(lower)
s_addc_u32  s[sgprSrdC+1], s[sgprSrdC+1], 0        // incToNextRow: gra SRD += inc(upper)
_buffer_load_b64 v[24:25], v11, s[sgprSrdC:sgprSrdC+3], 0, offen offset:0,  sc0 sc1 // load C for beta calc
/* (d1,vc1,d0,vc0)=(0,3,0,0) */
s_lshl_b32  s34, s[sgprStrideC1J], 1               // incToNextRow: Scale by BPE
s_add_u32  s[sgprSrdC+0], s[sgprSrdC+0], s34       // incToNextRow: gra SRD += inc(lower)
s_addc_u32  s[sgprSrdC+1], s[sgprSrdC+1], 0        // incToNextRow: gra SRD += inc(upper)
_buffer_load_b64 v[26:27], v11, s[sgprSrdC:sgprSrdC+3], 0, offen offset:0,  sc0 sc1 // load C for beta calc
/* (d1,vc1,d0,vc0)=(0,4,0,0) */
s_lshl_b32  s34, s[sgprStrideC1J], 1               // incToNextRow: Scale by BPE
s_add_u32  s[sgprSrdC+0], s[sgprSrdC+0], s34       // incToNextRow: gra SRD += inc(lower)
s_addc_u32  s[sgprSrdC+1], s[sgprSrdC+1], 0        // incToNextRow: gra SRD += inc(upper)
_buffer_load_b64 v[36:37], v11, s[sgprSrdC:sgprSrdC+3], 0, offen offset:0,  sc0 sc1 // load C for beta calc
/* (d1,vc1,d0,vc0)=(0,5,0,0) */
s_lshl_b32  s34, s[sgprStrideC1J], 1               // incToNextRow: Scale by BPE
s_add_u32  s[sgprSrdC+0], s[sgprSrdC+0], s34       // incToNextRow: gra SRD += inc(lower)
s_addc_u32  s[sgprSrdC+1], s[sgprSrdC+1], 0        // incToNextRow: gra SRD += inc(upper)
_buffer_load_b64 v[38:39], v11, s[sgprSrdC:sgprSrdC+3], 0, offen offset:0,  sc0 sc1 // load C for beta calc
/* (d1,vc1,d0,vc0)=(0,6,0,0) */
s_lshl_b32  s34, s[sgprStrideC1J], 1               // incToNextRow: Scale by BPE
s_add_u32  s[sgprSrdC+0], s[sgprSrdC+0], s34       // incToNextRow: gra SRD += inc(lower)
s_addc_u32  s[sgprSrdC+1], s[sgprSrdC+1], 0        // incToNextRow: gra SRD += inc(upper)
_buffer_load_b64 v[48:49], v11, s[sgprSrdC:sgprSrdC+3], 0, offen offset:0,  sc0 sc1 // load C for beta calc
/* (d1,vc1,d0,vc0)=(0,7,0,0) */
s_lshl_b32  s34, s[sgprStrideC1J], 1               // incToNextRow: Scale by BPE
s_add_u32  s[sgprSrdC+0], s[sgprSrdC+0], s34       // incToNextRow: gra SRD += inc(lower)
s_addc_u32  s[sgprSrdC+1], s[sgprSrdC+1], 0        // incToNextRow: gra SRD += inc(upper)
_buffer_load_b64 v[50:51], v11, s[sgprSrdC:sgprSrdC+3], 0, offen offset:0,  sc0 sc1 // load C for beta calc
/* (d1,vc1,d0,vc0)=(1,0,0,0) */
s_mul_i32 s34, s[sgprStrideC1J], 50                // scale StrideC *= numRows(25) * bpe
s_add_u32  s[sgprSrdC+0], s[sgprSrdC+0], s34       // incToNextRow: gra SRD += inc(lower)
s_addc_u32  s[sgprSrdC+1], s[sgprSrdC+1], 0        // incToNextRow: gra SRD += inc(upper)
_buffer_load_b64 v[60:61], v11, s[sgprSrdC:sgprSrdC+3], 0, offen offset:0,  sc0 sc1 // load C for beta calc
/* (d1,vc1,d0,vc0)=(1,1,0,0) */
s_lshl_b32  s34, s[sgprStrideC1J], 1               // incToNextRow: Scale by BPE
s_add_u32  s[sgprSrdC+0], s[sgprSrdC+0], s34       // incToNextRow: gra SRD += inc(lower)
s_addc_u32  s[sgprSrdC+1], s[sgprSrdC+1], 0        // incToNextRow: gra SRD += inc(upper)
_buffer_load_b64 v[62:63], v11, s[sgprSrdC:sgprSrdC+3], 0, offen offset:0,  sc0 sc1 // load C for beta calc
/* (d1,vc1,d0,vc0)=(1,2,0,0) */
s_lshl_b32  s34, s[sgprStrideC1J], 1               // incToNextRow: Scale by BPE
s_add_u32  s[sgprSrdC+0], s[sgprSrdC+0], s34       // incToNextRow: gra SRD += inc(lower)
s_addc_u32  s[sgprSrdC+1], s[sgprSrdC+1], 0        // incToNextRow: gra SRD += inc(upper)
_buffer_load_b64 v[72:73], v11, s[sgprSrdC:sgprSrdC+3], 0, offen offset:0,  sc0 sc1 // load C for beta calc
/* (d1,vc1,d0,vc0)=(1,3,0,0) */
s_lshl_b32  s34, s[sgprStrideC1J], 1               // incToNextRow: Scale by BPE
s_add_u32  s[sgprSrdC+0], s[sgprSrdC+0], s34       // incToNextRow: gra SRD += inc(lower)
s_addc_u32  s[sgprSrdC+1], s[sgprSrdC+1], 0        // incToNextRow: gra SRD += inc(upper)
_buffer_load_b64 v[74:75], v11, s[sgprSrdC:sgprSrdC+3], 0, offen offset:0,  sc0 sc1 // load C for beta calc
/* (d1,vc1,d0,vc0)=(1,4,0,0) */
s_lshl_b32  s34, s[sgprStrideC1J], 1               // incToNextRow: Scale by BPE
s_add_u32  s[sgprSrdC+0], s[sgprSrdC+0], s34       // incToNextRow: gra SRD += inc(lower)
s_addc_u32  s[sgprSrdC+1], s[sgprSrdC+1], 0        // incToNextRow: gra SRD += inc(upper)
_buffer_load_b64 v[84:85], v11, s[sgprSrdC:sgprSrdC+3], 0, offen offset:0,  sc0 sc1 // load C for beta calc
/* (d1,vc1,d0,vc0)=(1,5,0,0) */
s_lshl_b32  s34, s[sgprStrideC1J], 1               // incToNextRow: Scale by BPE
s_add_u32  s[sgprSrdC+0], s[sgprSrdC+0], s34       // incToNextRow: gra SRD += inc(lower)
s_addc_u32  s[sgprSrdC+1], s[sgprSrdC+1], 0        // incToNextRow: gra SRD += inc(upper)
_buffer_load_b64 v[86:87], v11, s[sgprSrdC:sgprSrdC+3], 0, offen offset:0,  sc0 sc1 // load C for beta calc
/* (d1,vc1,d0,vc0)=(1,6,0,0) */
s_lshl_b32  s34, s[sgprStrideC1J], 1               // incToNextRow: Scale by BPE
s_add_u32  s[sgprSrdC+0], s[sgprSrdC+0], s34       // incToNextRow: gra SRD += inc(lower)
s_addc_u32  s[sgprSrdC+1], s[sgprSrdC+1], 0        // incToNextRow: gra SRD += inc(upper)
_buffer_load_b64 v[96:97], v11, s[sgprSrdC:sgprSrdC+3], 0, offen offset:0,  sc0 sc1 // load C for beta calc
/* (d1,vc1,d0,vc0)=(1,7,0,0) */
s_lshl_b32  s34, s[sgprStrideC1J], 1               // incToNextRow: Scale by BPE
s_add_u32  s[sgprSrdC+0], s[sgprSrdC+0], s34       // incToNextRow: gra SRD += inc(lower)
s_addc_u32  s[sgprSrdC+1], s[sgprSrdC+1], 0        // incToNextRow: gra SRD += inc(upper)
_buffer_load_b64 v[98:99], v11, s[sgprSrdC:sgprSrdC+3], 0, offen offset:0,  sc0 sc1 // load C for beta calc
/* (d1,vc1,d0,vc0)=(2,0,0,0) */
s_mul_i32 s34, s[sgprStrideC1J], 50                // scale StrideC *= numRows(25) * bpe
s_add_u32  s[sgprSrdC+0], s[sgprSrdC+0], s34       // incToNextRow: gra SRD += inc(lower)
s_addc_u32  s[sgprSrdC+1], s[sgprSrdC+1], 0        // incToNextRow: gra SRD += inc(upper)
	;; [unrolled: 40-line block ×4, first 2 shown]
_buffer_load_b64 v[204:205], v11, s[sgprSrdC:sgprSrdC+3], 0, offen offset:0,  sc0 sc1 // load C for beta calc
/* (d1,vc1,d0,vc0)=(4,1,0,0) */
s_lshl_b32  s34, s[sgprStrideC1J], 1               // incToNextRow: Scale by BPE
s_add_u32  s[sgprSrdC+0], s[sgprSrdC+0], s34       // incToNextRow: gra SRD += inc(lower)
s_addc_u32  s[sgprSrdC+1], s[sgprSrdC+1], 0        // incToNextRow: gra SRD += inc(upper)
_buffer_load_b64 v[206:207], v11, s[sgprSrdC:sgprSrdC+3], 0, offen offset:0,  sc0 sc1 // load C for beta calc
/* (d1,vc1,d0,vc0)=(4,2,0,0) */
s_lshl_b32  s34, s[sgprStrideC1J], 1               // incToNextRow: Scale by BPE
s_add_u32  s[sgprSrdC+0], s[sgprSrdC+0], s34       // incToNextRow: gra SRD += inc(lower)
s_addc_u32  s[sgprSrdC+1], s[sgprSrdC+1], 0        // incToNextRow: gra SRD += inc(upper)
	;; [unrolled: 5-line block ×7, first 2 shown]
_buffer_load_b64 v[248:249], v11, s[sgprSrdC:sgprSrdC+3], 0, offen offset:0,  sc0 sc1 // load C for beta calc
_v_add_lshl_u32 v10, v3, v0, 0x1                   // optSingleColVgpr scaleToBpe: sharedAddrVgpr <- cinRowPtr + coord0, scaled by BPE. BSHERE:coord0=0, coord0Vgpr=0
v_accvgpr_read_b32 v[vgprValuC+16], acc0 // copy acc to vreg[0]
v_accvgpr_read_b32 v[vgprValuC+17], acc4 // copy acc to vreg[1]
v_accvgpr_read_b32 v[vgprValuC+18], acc8 // copy acc to vreg[2]
v_accvgpr_read_b32 v[vgprValuC+19], acc12 // copy acc to vreg[3]
v_accvgpr_read_b32 v[vgprValuC+20], acc16 // copy acc to vreg[4]
v_accvgpr_read_b32 v[vgprValuC+21], acc20 // copy acc to vreg[5]
v_accvgpr_read_b32 v[vgprValuC+22], acc24 // copy acc to vreg[6]
v_accvgpr_read_b32 v[vgprValuC+23], acc28 // copy acc to vreg[7]
v_accvgpr_read_b32 v[vgprValuC+28], acc1 // copy acc to vreg[8]
v_accvgpr_read_b32 v[vgprValuC+29], acc5 // copy acc to vreg[9]
v_accvgpr_read_b32 v[vgprValuC+30], acc9 // copy acc to vreg[10]
v_accvgpr_read_b32 v[vgprValuC+31], acc13 // copy acc to vreg[11]
v_accvgpr_read_b32 v[vgprValuC+32], acc17 // copy acc to vreg[12]
v_accvgpr_read_b32 v[vgprValuC+33], acc21 // copy acc to vreg[13]
v_accvgpr_read_b32 v[vgprValuC+34], acc25 // copy acc to vreg[14]
v_accvgpr_read_b32 v[vgprValuC+35], acc29 // copy acc to vreg[15]
v_accvgpr_read_b32 v[vgprValuC+40], acc2 // copy acc to vreg[16]
v_accvgpr_read_b32 v[vgprValuC+41], acc6 // copy acc to vreg[17]
v_accvgpr_read_b32 v[vgprValuC+42], acc10 // copy acc to vreg[18]
v_accvgpr_read_b32 v[vgprValuC+43], acc14 // copy acc to vreg[19]
v_accvgpr_read_b32 v[vgprValuC+44], acc18 // copy acc to vreg[20]
v_accvgpr_read_b32 v[vgprValuC+45], acc22 // copy acc to vreg[21]
v_accvgpr_read_b32 v[vgprValuC+46], acc26 // copy acc to vreg[22]
v_accvgpr_read_b32 v[vgprValuC+47], acc30 // copy acc to vreg[23]
v_accvgpr_read_b32 v[vgprValuC+52], acc3 // copy acc to vreg[24]
v_accvgpr_read_b32 v[vgprValuC+53], acc7 // copy acc to vreg[25]
v_accvgpr_read_b32 v[vgprValuC+54], acc11 // copy acc to vreg[26]
v_accvgpr_read_b32 v[vgprValuC+55], acc15 // copy acc to vreg[27]
v_accvgpr_read_b32 v[vgprValuC+56], acc19 // copy acc to vreg[28]
v_accvgpr_read_b32 v[vgprValuC+57], acc23 // copy acc to vreg[29]
v_accvgpr_read_b32 v[vgprValuC+58], acc27 // copy acc to vreg[30]
v_accvgpr_read_b32 v[vgprValuC+59], acc31 // copy acc to vreg[31]
v_accvgpr_read_b32 v[vgprValuC+64], acc32 // copy acc to vreg[32]
v_accvgpr_read_b32 v[vgprValuC+65], acc36 // copy acc to vreg[33]
v_accvgpr_read_b32 v[vgprValuC+66], acc40 // copy acc to vreg[34]
v_accvgpr_read_b32 v[vgprValuC+67], acc44 // copy acc to vreg[35]
v_accvgpr_read_b32 v[vgprValuC+68], acc48 // copy acc to vreg[36]
v_accvgpr_read_b32 v[vgprValuC+69], acc52 // copy acc to vreg[37]
v_accvgpr_read_b32 v[vgprValuC+70], acc56 // copy acc to vreg[38]
v_accvgpr_read_b32 v[vgprValuC+71], acc60 // copy acc to vreg[39]
v_accvgpr_read_b32 v[vgprValuC+76], acc33 // copy acc to vreg[40]
v_accvgpr_read_b32 v[vgprValuC+77], acc37 // copy acc to vreg[41]
v_accvgpr_read_b32 v[vgprValuC+78], acc41 // copy acc to vreg[42]
v_accvgpr_read_b32 v[vgprValuC+79], acc45 // copy acc to vreg[43]
v_accvgpr_read_b32 v[vgprValuC+80], acc49 // copy acc to vreg[44]
v_accvgpr_read_b32 v[vgprValuC+81], acc53 // copy acc to vreg[45]
v_accvgpr_read_b32 v[vgprValuC+82], acc57 // copy acc to vreg[46]
v_accvgpr_read_b32 v[vgprValuC+83], acc61 // copy acc to vreg[47]
v_accvgpr_read_b32 v[vgprValuC+88], acc34 // copy acc to vreg[48]
v_accvgpr_read_b32 v[vgprValuC+89], acc38 // copy acc to vreg[49]
v_accvgpr_read_b32 v[vgprValuC+90], acc42 // copy acc to vreg[50]
v_accvgpr_read_b32 v[vgprValuC+91], acc46 // copy acc to vreg[51]
v_accvgpr_read_b32 v[vgprValuC+92], acc50 // copy acc to vreg[52]
v_accvgpr_read_b32 v[vgprValuC+93], acc54 // copy acc to vreg[53]
v_accvgpr_read_b32 v[vgprValuC+94], acc58 // copy acc to vreg[54]
v_accvgpr_read_b32 v[vgprValuC+95], acc62 // copy acc to vreg[55]
v_accvgpr_read_b32 v[vgprValuC+100], acc35 // copy acc to vreg[56]
v_accvgpr_read_b32 v[vgprValuC+101], acc39 // copy acc to vreg[57]
v_accvgpr_read_b32 v[vgprValuC+102], acc43 // copy acc to vreg[58]
v_accvgpr_read_b32 v[vgprValuC+103], acc47 // copy acc to vreg[59]
v_accvgpr_read_b32 v[vgprValuC+104], acc51 // copy acc to vreg[60]
v_accvgpr_read_b32 v[vgprValuC+105], acc55 // copy acc to vreg[61]
v_accvgpr_read_b32 v[vgprValuC+106], acc59 // copy acc to vreg[62]
v_accvgpr_read_b32 v[vgprValuC+107], acc63 // copy acc to vreg[63]
v_accvgpr_read_b32 v[vgprValuC+112], acc64 // copy acc to vreg[64]
v_accvgpr_read_b32 v[vgprValuC+113], acc68 // copy acc to vreg[65]
v_accvgpr_read_b32 v[vgprValuC+114], acc72 // copy acc to vreg[66]
v_accvgpr_read_b32 v[vgprValuC+115], acc76 // copy acc to vreg[67]
v_accvgpr_read_b32 v[vgprValuC+116], acc80 // copy acc to vreg[68]
v_accvgpr_read_b32 v[vgprValuC+117], acc84 // copy acc to vreg[69]
v_accvgpr_read_b32 v[vgprValuC+118], acc88 // copy acc to vreg[70]
v_accvgpr_read_b32 v[vgprValuC+119], acc92 // copy acc to vreg[71]
v_accvgpr_read_b32 v[vgprValuC+124], acc65 // copy acc to vreg[72]
v_accvgpr_read_b32 v[vgprValuC+125], acc69 // copy acc to vreg[73]
v_accvgpr_read_b32 v[vgprValuC+126], acc73 // copy acc to vreg[74]
v_accvgpr_read_b32 v[vgprValuC+127], acc77 // copy acc to vreg[75]
v_accvgpr_read_b32 v[vgprValuC+128], acc81 // copy acc to vreg[76]
v_accvgpr_read_b32 v[vgprValuC+129], acc85 // copy acc to vreg[77]
v_accvgpr_read_b32 v[vgprValuC+130], acc89 // copy acc to vreg[78]
v_accvgpr_read_b32 v[vgprValuC+131], acc93 // copy acc to vreg[79]
v_accvgpr_read_b32 v[vgprValuC+136], acc66 // copy acc to vreg[80]
v_accvgpr_read_b32 v[vgprValuC+137], acc70 // copy acc to vreg[81]
v_accvgpr_read_b32 v[vgprValuC+138], acc74 // copy acc to vreg[82]
v_accvgpr_read_b32 v[vgprValuC+139], acc78 // copy acc to vreg[83]
v_accvgpr_read_b32 v[vgprValuC+140], acc82 // copy acc to vreg[84]
v_accvgpr_read_b32 v[vgprValuC+141], acc86 // copy acc to vreg[85]
v_accvgpr_read_b32 v[vgprValuC+142], acc90 // copy acc to vreg[86]
v_accvgpr_read_b32 v[vgprValuC+143], acc94 // copy acc to vreg[87]
v_accvgpr_read_b32 v[vgprValuC+148], acc67 // copy acc to vreg[88]
v_accvgpr_read_b32 v[vgprValuC+149], acc71 // copy acc to vreg[89]
v_accvgpr_read_b32 v[vgprValuC+150], acc75 // copy acc to vreg[90]
v_accvgpr_read_b32 v[vgprValuC+151], acc79 // copy acc to vreg[91]
v_accvgpr_read_b32 v[vgprValuC+152], acc83 // copy acc to vreg[92]
v_accvgpr_read_b32 v[vgprValuC+153], acc87 // copy acc to vreg[93]
v_accvgpr_read_b32 v[vgprValuC+154], acc91 // copy acc to vreg[94]
v_accvgpr_read_b32 v[vgprValuC+155], acc95 // copy acc to vreg[95]
v_accvgpr_read_b32 v[vgprValuC+160], acc96 // copy acc to vreg[96]
v_accvgpr_read_b32 v[vgprValuC+161], acc100 // copy acc to vreg[97]
v_accvgpr_read_b32 v[vgprValuC+162], acc104 // copy acc to vreg[98]
v_accvgpr_read_b32 v[vgprValuC+163], acc108 // copy acc to vreg[99]
v_accvgpr_read_b32 v[vgprValuC+164], acc112 // copy acc to vreg[100]
v_accvgpr_read_b32 v[vgprValuC+165], acc116 // copy acc to vreg[101]
v_accvgpr_read_b32 v[vgprValuC+166], acc120 // copy acc to vreg[102]
v_accvgpr_read_b32 v[vgprValuC+167], acc124 // copy acc to vreg[103]
v_accvgpr_read_b32 v[vgprValuC+172], acc97 // copy acc to vreg[104]
v_accvgpr_read_b32 v[vgprValuC+173], acc101 // copy acc to vreg[105]
v_accvgpr_read_b32 v[vgprValuC+174], acc105 // copy acc to vreg[106]
v_accvgpr_read_b32 v[vgprValuC+175], acc109 // copy acc to vreg[107]
v_accvgpr_read_b32 v[vgprValuC+176], acc113 // copy acc to vreg[108]
v_accvgpr_read_b32 v[vgprValuC+177], acc117 // copy acc to vreg[109]
v_accvgpr_read_b32 v[vgprValuC+178], acc121 // copy acc to vreg[110]
v_accvgpr_read_b32 v[vgprValuC+179], acc125 // copy acc to vreg[111]
v_accvgpr_read_b32 v[vgprValuC+184], acc98 // copy acc to vreg[112]
v_accvgpr_read_b32 v[vgprValuC+185], acc102 // copy acc to vreg[113]
v_accvgpr_read_b32 v[vgprValuC+186], acc106 // copy acc to vreg[114]
v_accvgpr_read_b32 v[vgprValuC+187], acc110 // copy acc to vreg[115]
v_accvgpr_read_b32 v[vgprValuC+188], acc114 // copy acc to vreg[116]
v_accvgpr_read_b32 v[vgprValuC+189], acc118 // copy acc to vreg[117]
v_accvgpr_read_b32 v[vgprValuC+190], acc122 // copy acc to vreg[118]
v_accvgpr_read_b32 v[vgprValuC+191], acc126 // copy acc to vreg[119]
v_accvgpr_read_b32 v[vgprValuC+196], acc99 // copy acc to vreg[120]
v_accvgpr_read_b32 v[vgprValuC+197], acc103 // copy acc to vreg[121]
v_accvgpr_read_b32 v[vgprValuC+198], acc107 // copy acc to vreg[122]
v_accvgpr_read_b32 v[vgprValuC+199], acc111 // copy acc to vreg[123]
v_accvgpr_read_b32 v[vgprValuC+200], acc115 // copy acc to vreg[124]
v_accvgpr_read_b32 v[vgprValuC+201], acc119 // copy acc to vreg[125]
v_accvgpr_read_b32 v[vgprValuC+202], acc123 // copy acc to vreg[126]
v_accvgpr_read_b32 v[vgprValuC+203], acc127 // copy acc to vreg[127]
v_accvgpr_read_b32 v[vgprValuC+208], acc128 // copy acc to vreg[128]
v_accvgpr_read_b32 v[vgprValuC+209], acc132 // copy acc to vreg[129]
v_accvgpr_read_b32 v[vgprValuC+210], acc136 // copy acc to vreg[130]
v_accvgpr_read_b32 v[vgprValuC+211], acc140 // copy acc to vreg[131]
v_accvgpr_read_b32 v[vgprValuC+212], acc144 // copy acc to vreg[132]
v_accvgpr_read_b32 v[vgprValuC+213], acc148 // copy acc to vreg[133]
v_accvgpr_read_b32 v[vgprValuC+214], acc152 // copy acc to vreg[134]
v_accvgpr_read_b32 v[vgprValuC+215], acc156 // copy acc to vreg[135]
v_accvgpr_read_b32 v[vgprValuC+220], acc129 // copy acc to vreg[136]
v_accvgpr_read_b32 v[vgprValuC+221], acc133 // copy acc to vreg[137]
v_accvgpr_read_b32 v[vgprValuC+222], acc137 // copy acc to vreg[138]
v_accvgpr_read_b32 v[vgprValuC+223], acc141 // copy acc to vreg[139]
v_accvgpr_read_b32 v[vgprValuC+228], acc145 // copy acc to vreg[140]
v_accvgpr_read_b32 v[vgprValuC+229], acc149 // copy acc to vreg[141]
v_accvgpr_read_b32 v[vgprValuC+230], acc153 // copy acc to vreg[142]
v_accvgpr_read_b32 v[vgprValuC+231], acc157 // copy acc to vreg[143]
v_accvgpr_read_b32 v[vgprValuC+232], acc130 // copy acc to vreg[144]
v_accvgpr_read_b32 v[vgprValuC+233], acc134 // copy acc to vreg[145]
v_accvgpr_read_b32 v[vgprValuC+234], acc138 // copy acc to vreg[146]
v_accvgpr_read_b32 v[vgprValuC+235], acc142 // copy acc to vreg[147]
v_accvgpr_read_b32 v[vgprValuC+240], acc146 // copy acc to vreg[148]
v_accvgpr_read_b32 v[vgprValuC+241], acc150 // copy acc to vreg[149]
v_accvgpr_read_b32 v[vgprValuC+242], acc154 // copy acc to vreg[150]
v_accvgpr_read_b32 v[vgprValuC+243], acc158 // copy acc to vreg[151]
v_accvgpr_read_b32 v[vgprValuC+244], acc131 // copy acc to vreg[152]
v_accvgpr_read_b32 v[vgprValuC+245], acc135 // copy acc to vreg[153]
v_accvgpr_read_b32 v[vgprValuC+246], acc139 // copy acc to vreg[154]
v_accvgpr_read_b32 v[vgprValuC+247], acc143 // copy acc to vreg[155]
v_accvgpr_read_b32 v[vgprValuC+252], acc147 // copy acc to vreg[156]
v_accvgpr_read_b32 v[vgprValuC+253], acc151 // copy acc to vreg[157]
v_accvgpr_read_b32 v[vgprValuC+254], acc155 // copy acc to vreg[158]
v_accvgpr_read_b32 v[vgprValuC+255], acc159 // copy acc to vreg[159]
s_nop 1                                            // 2 wait states required before reading vgpr

/* rC *= alpha batchElements=[(0, 0, 0, 0), (0, 0, 1, 0), (0, 0, 2, 0), (0, 0, 3, 0), (0, 0, 4, 0), (0, 0, 5, 0), (0, 0, 6, 0), (0, 0, 7, 0), (1, 0, 0, 0), (1, 0, 1, 0), (1, 0, 2, 0), (1, 0, 3, 0), (1, 0, 4, 0), (1, 0, 5, 0), (1, 0, 6, 0), (1, 0, 7, 0), (2, 0, 0, 0), (2, 0, 1, 0), (2, 0, 2, 0), (2, 0, 3, 0), (2, 0, 4, 0), (2, 0, 5, 0), (2, 0, 6, 0), (2, 0, 7, 0), (3, 0, 0, 0), (3, 0, 1, 0), (3, 0, 2, 0), (3, 0, 3, 0), (3, 0, 4, 0), (3, 0, 5, 0), (3, 0, 6, 0), (3, 0, 7, 0), (4, 0, 0, 0), (4, 0, 1, 0), (4, 0, 2, 0), (4, 0, 3, 0), (4, 0, 4, 0), (4, 0, 5, 0), (4, 0, 6, 0), (4, 0, 7, 0)] */
v_mul_f32 v[vgprValuC+16], s[sgprAlpha], v[vgprValuC+16] // *= alpha
v_mul_f32 v[vgprValuC+17], s[sgprAlpha], v[vgprValuC+17] // *= alpha
	;; [unrolled: 1-line block ×160, first 2 shown]

/* apply mask, calc new C and issue writes */
v_mov_b32 v7, 0xffff0000                           // mask for pack two bfloat16 element to 32bit
v_mov_b32 v8, 0x7fff0000                           // fp32 Nan
v_mov_b32 v9, 0x7fff                               // rounding bias for bfloat16

s_waitcnt vmcnt(39)                                // wait C (interleaved) 39 = 40 - 0 + 0 - 1
v_lshlrev_b32 v4, 16, v12                          // convert bf16 to fp32
_v_mac_f32 v[vgprValuC+16], v4, s[sgprBeta]        // finalSum = sum*alpha + C*beta
v_and_b32 v4, v12, v7                              // convert bf16 to fp32
_v_mac_f32 v[vgprValuC+17], v4, s[sgprBeta]        // finalSum = sum*alpha + C*beta
v_lshlrev_b32 v4, 16, v13                          // convert bf16 to fp32
_v_mac_f32 v[vgprValuC+18], v4, s[sgprBeta]        // finalSum = sum*alpha + C*beta
v_and_b32 v4, v13, v7                              // convert bf16 to fp32
_v_mac_f32 v[vgprValuC+19], v4, s[sgprBeta]        // finalSum = sum*alpha + C*beta
v_cmp_u_f32 s[34:35], v[vgprValuC+16], v[vgprValuC+16] // check Nan
v_bfe_u32 v6, v[vgprValuC+16], 16, 1               // Non-Nan case: store lsb of bf16
v_add3_u32 v6, v[vgprValuC+16], v6, v9             // Non-Nan case: add lsb and the increment for rounding
v_cndmask_b32 v[vgprValuC+16], v6, v8, s[34:35]    // 
v_lshrrev_b32 v[vgprValuC+16], 16, v[vgprValuC+16] // convert C to bf16
v_cmp_u_f32 s[34:35], v[vgprValuC+17], v[vgprValuC+17] // check Nan
v_bfe_u32 v6, v[vgprValuC+17], 16, 1               // Non-Nan case: store lsb of bf16
v_add3_u32 v6, v[vgprValuC+17], v6, v9             // Non-Nan case: add lsb and the increment for rounding
v_cndmask_b32 v[vgprValuC+17], v6, v8, s[34:35]    // 
v_and_or_b32 v16, v[vgprValuC+17], v7, v[vgprValuC+16] // pack two bf16 to dword
v_cmp_u_f32 s[34:35], v[vgprValuC+18], v[vgprValuC+18] // check Nan
v_bfe_u32 v6, v[vgprValuC+18], 16, 1               // Non-Nan case: store lsb of bf16
v_add3_u32 v6, v[vgprValuC+18], v6, v9             // Non-Nan case: add lsb and the increment for rounding
v_cndmask_b32 v[vgprValuC+18], v6, v8, s[34:35]    // 
v_lshrrev_b32 v[vgprValuC+18], 16, v[vgprValuC+18] // convert C to bf16
v_cmp_u_f32 s[34:35], v[vgprValuC+19], v[vgprValuC+19] // check Nan
v_bfe_u32 v6, v[vgprValuC+19], 16, 1               // Non-Nan case: store lsb of bf16
v_add3_u32 v6, v[vgprValuC+19], v6, v9             // Non-Nan case: add lsb and the increment for rounding
v_cndmask_b32 v[vgprValuC+19], v6, v8, s[34:35]    // 
v_and_or_b32 v17, v[vgprValuC+19], v7, v[vgprValuC+18] // pack two bf16 to dword
_buffer_store_b64 v[16:17], v10, s[sgprSrdD:sgprSrdD+3], 0, offen, offset:0,  sc0 sc1 // store D

s_waitcnt vmcnt(39)                                // wait C (interleaved) 39 = 40 - 1 + 1 - 1
v_lshlrev_b32 v4, 16, v14                          // convert bf16 to fp32
_v_mac_f32 v[vgprValuC+20], v4, s[sgprBeta]        // finalSum = sum*alpha + C*beta
v_and_b32 v4, v14, v7                              // convert bf16 to fp32
_v_mac_f32 v[vgprValuC+21], v4, s[sgprBeta]        // finalSum = sum*alpha + C*beta
v_lshlrev_b32 v4, 16, v15                          // convert bf16 to fp32
_v_mac_f32 v[vgprValuC+22], v4, s[sgprBeta]        // finalSum = sum*alpha + C*beta
v_and_b32 v4, v15, v7                              // convert bf16 to fp32
_v_mac_f32 v[vgprValuC+23], v4, s[sgprBeta]        // finalSum = sum*alpha + C*beta
v_cmp_u_f32 s[34:35], v[vgprValuC+20], v[vgprValuC+20] // check Nan
v_bfe_u32 v6, v[vgprValuC+20], 16, 1               // Non-Nan case: store lsb of bf16
v_add3_u32 v6, v[vgprValuC+20], v6, v9             // Non-Nan case: add lsb and the increment for rounding
v_cndmask_b32 v[vgprValuC+20], v6, v8, s[34:35]    // 
v_lshrrev_b32 v[vgprValuC+20], 16, v[vgprValuC+20] // convert C to bf16
v_cmp_u_f32 s[34:35], v[vgprValuC+21], v[vgprValuC+21] // check Nan
v_bfe_u32 v6, v[vgprValuC+21], 16, 1               // Non-Nan case: store lsb of bf16
v_add3_u32 v6, v[vgprValuC+21], v6, v9             // Non-Nan case: add lsb and the increment for rounding
v_cndmask_b32 v[vgprValuC+21], v6, v8, s[34:35]    // 
v_and_or_b32 v20, v[vgprValuC+21], v7, v[vgprValuC+20] // pack two bf16 to dword
v_cmp_u_f32 s[34:35], v[vgprValuC+22], v[vgprValuC+22] // check Nan
v_bfe_u32 v6, v[vgprValuC+22], 16, 1               // Non-Nan case: store lsb of bf16
v_add3_u32 v6, v[vgprValuC+22], v6, v9             // Non-Nan case: add lsb and the increment for rounding
v_cndmask_b32 v[vgprValuC+22], v6, v8, s[34:35]    // 
v_lshrrev_b32 v[vgprValuC+22], 16, v[vgprValuC+22] // convert C to bf16
v_cmp_u_f32 s[34:35], v[vgprValuC+23], v[vgprValuC+23] // check Nan
v_bfe_u32 v6, v[vgprValuC+23], 16, 1               // Non-Nan case: store lsb of bf16
v_add3_u32 v6, v[vgprValuC+23], v6, v9             // Non-Nan case: add lsb and the increment for rounding
v_cndmask_b32 v[vgprValuC+23], v6, v8, s[34:35]    // 
v_and_or_b32 v21, v[vgprValuC+23], v7, v[vgprValuC+22] // pack two bf16 to dword
s_lshl_b32  s34, s[sgprStrideD1J], 1               // incToNextRow: Scale by BPE
s_add_u32  s[sgprSrdD+0], s[sgprSrdD+0], s34       // incToNextRow: gra SRD += inc(lower)
s_addc_u32  s[sgprSrdD+1], s[sgprSrdD+1], 0        // incToNextRow: gra SRD += inc(upper)
_buffer_store_b64 v[20:21], v10, s[sgprSrdD:sgprSrdD+3], 0, offen, offset:0,  sc0 sc1 // store D

s_waitcnt vmcnt(39)                                // wait C (interleaved) 39 = 40 - 2 + 2 - 1
v_lshlrev_b32 v4, 16, v24                          // convert bf16 to fp32
_v_mac_f32 v[vgprValuC+28], v4, s[sgprBeta]        // finalSum = sum*alpha + C*beta
v_and_b32 v4, v24, v7                              // convert bf16 to fp32
_v_mac_f32 v[vgprValuC+29], v4, s[sgprBeta]        // finalSum = sum*alpha + C*beta
v_lshlrev_b32 v4, 16, v25                          // convert bf16 to fp32
_v_mac_f32 v[vgprValuC+30], v4, s[sgprBeta]        // finalSum = sum*alpha + C*beta
v_and_b32 v4, v25, v7                              // convert bf16 to fp32
_v_mac_f32 v[vgprValuC+31], v4, s[sgprBeta]        // finalSum = sum*alpha + C*beta
v_cmp_u_f32 s[34:35], v[vgprValuC+28], v[vgprValuC+28] // check Nan
v_bfe_u32 v6, v[vgprValuC+28], 16, 1               // Non-Nan case: store lsb of bf16
v_add3_u32 v6, v[vgprValuC+28], v6, v9             // Non-Nan case: add lsb and the increment for rounding
v_cndmask_b32 v[vgprValuC+28], v6, v8, s[34:35]    // 
v_lshrrev_b32 v[vgprValuC+28], 16, v[vgprValuC+28] // convert C to bf16
v_cmp_u_f32 s[34:35], v[vgprValuC+29], v[vgprValuC+29] // check Nan
v_bfe_u32 v6, v[vgprValuC+29], 16, 1               // Non-Nan case: store lsb of bf16
v_add3_u32 v6, v[vgprValuC+29], v6, v9             // Non-Nan case: add lsb and the increment for rounding
v_cndmask_b32 v[vgprValuC+29], v6, v8, s[34:35]    // 
v_and_or_b32 v28, v[vgprValuC+29], v7, v[vgprValuC+28] // pack two bf16 to dword
v_cmp_u_f32 s[34:35], v[vgprValuC+30], v[vgprValuC+30] // check Nan
v_bfe_u32 v6, v[vgprValuC+30], 16, 1               // Non-Nan case: store lsb of bf16
v_add3_u32 v6, v[vgprValuC+30], v6, v9             // Non-Nan case: add lsb and the increment for rounding
v_cndmask_b32 v[vgprValuC+30], v6, v8, s[34:35]    // 
v_lshrrev_b32 v[vgprValuC+30], 16, v[vgprValuC+30] // convert C to bf16
v_cmp_u_f32 s[34:35], v[vgprValuC+31], v[vgprValuC+31] // check Nan
v_bfe_u32 v6, v[vgprValuC+31], 16, 1               // Non-Nan case: store lsb of bf16
v_add3_u32 v6, v[vgprValuC+31], v6, v9             // Non-Nan case: add lsb and the increment for rounding
v_cndmask_b32 v[vgprValuC+31], v6, v8, s[34:35]    // 
v_and_or_b32 v29, v[vgprValuC+31], v7, v[vgprValuC+30] // pack two bf16 to dword
s_lshl_b32  s34, s[sgprStrideD1J], 1               // incToNextRow: Scale by BPE
s_add_u32  s[sgprSrdD+0], s[sgprSrdD+0], s34       // incToNextRow: gra SRD += inc(lower)
s_addc_u32  s[sgprSrdD+1], s[sgprSrdD+1], 0        // incToNextRow: gra SRD += inc(upper)
	;; [unrolled: 34-line block ×7, first 2 shown]
_buffer_store_b64 v[56:57], v10, s[sgprSrdD:sgprSrdD+3], 0, offen, offset:0,  sc0 sc1 // store D

s_waitcnt vmcnt(39)                                // wait C (interleaved) 39 = 40 - 8 + 8 - 1
v_lshlrev_b32 v4, 16, v60                          // convert bf16 to fp32
_v_mac_f32 v[vgprValuC+64], v4, s[sgprBeta]        // finalSum = sum*alpha + C*beta
v_and_b32 v4, v60, v7                              // convert bf16 to fp32
_v_mac_f32 v[vgprValuC+65], v4, s[sgprBeta]        // finalSum = sum*alpha + C*beta
v_lshlrev_b32 v4, 16, v61                          // convert bf16 to fp32
_v_mac_f32 v[vgprValuC+66], v4, s[sgprBeta]        // finalSum = sum*alpha + C*beta
v_and_b32 v4, v61, v7                              // convert bf16 to fp32
_v_mac_f32 v[vgprValuC+67], v4, s[sgprBeta]        // finalSum = sum*alpha + C*beta
v_cmp_u_f32 s[34:35], v[vgprValuC+64], v[vgprValuC+64] // check Nan
v_bfe_u32 v6, v[vgprValuC+64], 16, 1               // Non-Nan case: store lsb of bf16
v_add3_u32 v6, v[vgprValuC+64], v6, v9             // Non-Nan case: add lsb and the increment for rounding
v_cndmask_b32 v[vgprValuC+64], v6, v8, s[34:35]    // 
v_lshrrev_b32 v[vgprValuC+64], 16, v[vgprValuC+64] // convert C to bf16
v_cmp_u_f32 s[34:35], v[vgprValuC+65], v[vgprValuC+65] // check Nan
v_bfe_u32 v6, v[vgprValuC+65], 16, 1               // Non-Nan case: store lsb of bf16
v_add3_u32 v6, v[vgprValuC+65], v6, v9             // Non-Nan case: add lsb and the increment for rounding
v_cndmask_b32 v[vgprValuC+65], v6, v8, s[34:35]    // 
v_and_or_b32 v64, v[vgprValuC+65], v7, v[vgprValuC+64] // pack two bf16 to dword
v_cmp_u_f32 s[34:35], v[vgprValuC+66], v[vgprValuC+66] // check Nan
v_bfe_u32 v6, v[vgprValuC+66], 16, 1               // Non-Nan case: store lsb of bf16
v_add3_u32 v6, v[vgprValuC+66], v6, v9             // Non-Nan case: add lsb and the increment for rounding
v_cndmask_b32 v[vgprValuC+66], v6, v8, s[34:35]    // 
v_lshrrev_b32 v[vgprValuC+66], 16, v[vgprValuC+66] // convert C to bf16
v_cmp_u_f32 s[34:35], v[vgprValuC+67], v[vgprValuC+67] // check Nan
v_bfe_u32 v6, v[vgprValuC+67], 16, 1               // Non-Nan case: store lsb of bf16
v_add3_u32 v6, v[vgprValuC+67], v6, v9             // Non-Nan case: add lsb and the increment for rounding
v_cndmask_b32 v[vgprValuC+67], v6, v8, s[34:35]    // 
v_and_or_b32 v65, v[vgprValuC+67], v7, v[vgprValuC+66] // pack two bf16 to dword
s_mul_i32 s34, s[sgprStrideD1J], 50                // scale StrideD *= numRows(25) * bpe
s_add_u32  s[sgprSrdD+0], s[sgprSrdD+0], s34       // incToNextRow: gra SRD += inc(lower)
s_addc_u32  s[sgprSrdD+1], s[sgprSrdD+1], 0        // incToNextRow: gra SRD += inc(upper)
_buffer_store_b64 v[64:65], v10, s[sgprSrdD:sgprSrdD+3], 0, offen, offset:0,  sc0 sc1 // store D

s_waitcnt vmcnt(39)                                // wait C (interleaved) 39 = 40 - 9 + 9 - 1
v_lshlrev_b32 v4, 16, v62                          // convert bf16 to fp32
_v_mac_f32 v[vgprValuC+68], v4, s[sgprBeta]        // finalSum = sum*alpha + C*beta
v_and_b32 v4, v62, v7                              // convert bf16 to fp32
_v_mac_f32 v[vgprValuC+69], v4, s[sgprBeta]        // finalSum = sum*alpha + C*beta
v_lshlrev_b32 v4, 16, v63                          // convert bf16 to fp32
_v_mac_f32 v[vgprValuC+70], v4, s[sgprBeta]        // finalSum = sum*alpha + C*beta
v_and_b32 v4, v63, v7                              // convert bf16 to fp32
_v_mac_f32 v[vgprValuC+71], v4, s[sgprBeta]        // finalSum = sum*alpha + C*beta
v_cmp_u_f32 s[34:35], v[vgprValuC+68], v[vgprValuC+68] // check Nan
v_bfe_u32 v6, v[vgprValuC+68], 16, 1               // Non-Nan case: store lsb of bf16
v_add3_u32 v6, v[vgprValuC+68], v6, v9             // Non-Nan case: add lsb and the increment for rounding
v_cndmask_b32 v[vgprValuC+68], v6, v8, s[34:35]    // 
v_lshrrev_b32 v[vgprValuC+68], 16, v[vgprValuC+68] // convert C to bf16
v_cmp_u_f32 s[34:35], v[vgprValuC+69], v[vgprValuC+69] // check Nan
v_bfe_u32 v6, v[vgprValuC+69], 16, 1               // Non-Nan case: store lsb of bf16
v_add3_u32 v6, v[vgprValuC+69], v6, v9             // Non-Nan case: add lsb and the increment for rounding
v_cndmask_b32 v[vgprValuC+69], v6, v8, s[34:35]    // 
v_and_or_b32 v68, v[vgprValuC+69], v7, v[vgprValuC+68] // pack two bf16 to dword
v_cmp_u_f32 s[34:35], v[vgprValuC+70], v[vgprValuC+70] // check Nan
v_bfe_u32 v6, v[vgprValuC+70], 16, 1               // Non-Nan case: store lsb of bf16
v_add3_u32 v6, v[vgprValuC+70], v6, v9             // Non-Nan case: add lsb and the increment for rounding
v_cndmask_b32 v[vgprValuC+70], v6, v8, s[34:35]    // 
v_lshrrev_b32 v[vgprValuC+70], 16, v[vgprValuC+70] // convert C to bf16
v_cmp_u_f32 s[34:35], v[vgprValuC+71], v[vgprValuC+71] // check Nan
v_bfe_u32 v6, v[vgprValuC+71], 16, 1               // Non-Nan case: store lsb of bf16
v_add3_u32 v6, v[vgprValuC+71], v6, v9             // Non-Nan case: add lsb and the increment for rounding
v_cndmask_b32 v[vgprValuC+71], v6, v8, s[34:35]    // 
v_and_or_b32 v69, v[vgprValuC+71], v7, v[vgprValuC+70] // pack two bf16 to dword
s_lshl_b32  s34, s[sgprStrideD1J], 1               // incToNextRow: Scale by BPE
s_add_u32  s[sgprSrdD+0], s[sgprSrdD+0], s34       // incToNextRow: gra SRD += inc(lower)
s_addc_u32  s[sgprSrdD+1], s[sgprSrdD+1], 0        // incToNextRow: gra SRD += inc(upper)
_buffer_store_b64 v[68:69], v10, s[sgprSrdD:sgprSrdD+3], 0, offen, offset:0,  sc0 sc1 // store D

s_waitcnt vmcnt(39)                                // wait C (interleaved) 39 = 40 - 10 + 10 - 1
v_lshlrev_b32 v4, 16, v72                          // convert bf16 to fp32
_v_mac_f32 v[vgprValuC+76], v4, s[sgprBeta]        // finalSum = sum*alpha + C*beta
v_and_b32 v4, v72, v7                              // convert bf16 to fp32
_v_mac_f32 v[vgprValuC+77], v4, s[sgprBeta]        // finalSum = sum*alpha + C*beta
v_lshlrev_b32 v4, 16, v73                          // convert bf16 to fp32
_v_mac_f32 v[vgprValuC+78], v4, s[sgprBeta]        // finalSum = sum*alpha + C*beta
v_and_b32 v4, v73, v7                              // convert bf16 to fp32
_v_mac_f32 v[vgprValuC+79], v4, s[sgprBeta]        // finalSum = sum*alpha + C*beta
v_cmp_u_f32 s[34:35], v[vgprValuC+76], v[vgprValuC+76] // check Nan
v_bfe_u32 v6, v[vgprValuC+76], 16, 1               // Non-Nan case: store lsb of bf16
v_add3_u32 v6, v[vgprValuC+76], v6, v9             // Non-Nan case: add lsb and the increment for rounding
v_cndmask_b32 v[vgprValuC+76], v6, v8, s[34:35]    // 
v_lshrrev_b32 v[vgprValuC+76], 16, v[vgprValuC+76] // convert C to bf16
v_cmp_u_f32 s[34:35], v[vgprValuC+77], v[vgprValuC+77] // check Nan
v_bfe_u32 v6, v[vgprValuC+77], 16, 1               // Non-Nan case: store lsb of bf16
v_add3_u32 v6, v[vgprValuC+77], v6, v9             // Non-Nan case: add lsb and the increment for rounding
v_cndmask_b32 v[vgprValuC+77], v6, v8, s[34:35]    // 
v_and_or_b32 v76, v[vgprValuC+77], v7, v[vgprValuC+76] // pack two bf16 to dword
v_cmp_u_f32 s[34:35], v[vgprValuC+78], v[vgprValuC+78] // check Nan
v_bfe_u32 v6, v[vgprValuC+78], 16, 1               // Non-Nan case: store lsb of bf16
v_add3_u32 v6, v[vgprValuC+78], v6, v9             // Non-Nan case: add lsb and the increment for rounding
v_cndmask_b32 v[vgprValuC+78], v6, v8, s[34:35]    // 
v_lshrrev_b32 v[vgprValuC+78], 16, v[vgprValuC+78] // convert C to bf16
v_cmp_u_f32 s[34:35], v[vgprValuC+79], v[vgprValuC+79] // check Nan
v_bfe_u32 v6, v[vgprValuC+79], 16, 1               // Non-Nan case: store lsb of bf16
v_add3_u32 v6, v[vgprValuC+79], v6, v9             // Non-Nan case: add lsb and the increment for rounding
v_cndmask_b32 v[vgprValuC+79], v6, v8, s[34:35]    // 
v_and_or_b32 v77, v[vgprValuC+79], v7, v[vgprValuC+78] // pack two bf16 to dword
s_lshl_b32  s34, s[sgprStrideD1J], 1               // incToNextRow: Scale by BPE
	;; [unrolled: 34-line block ×5, first 2 shown]
s_add_u32  s[sgprSrdD+0], s[sgprSrdD+0], s34       // incToNextRow: gra SRD += inc(lower)
s_addc_u32  s[sgprSrdD+1], s[sgprSrdD+1], 0        // incToNextRow: gra SRD += inc(upper)
_buffer_store_b64 v[92:93], v10, s[sgprSrdD:sgprSrdD+3], 0, offen, offset:0,  sc0 sc1 // store D

s_waitcnt vmcnt(39)                                // wait C (interleaved) 39 = 40 - 14 + 14 - 1
v_lshlrev_b32 v4, 16, v96                          // convert bf16 to fp32
_v_mac_f32 v[vgprValuC+100], v4, s[sgprBeta]       // finalSum = sum*alpha + C*beta
v_and_b32 v4, v96, v7                              // convert bf16 to fp32
_v_mac_f32 v[vgprValuC+101], v4, s[sgprBeta]       // finalSum = sum*alpha + C*beta
v_lshlrev_b32 v4, 16, v97                          // convert bf16 to fp32
_v_mac_f32 v[vgprValuC+102], v4, s[sgprBeta]       // finalSum = sum*alpha + C*beta
v_and_b32 v4, v97, v7                              // convert bf16 to fp32
_v_mac_f32 v[vgprValuC+103], v4, s[sgprBeta]       // finalSum = sum*alpha + C*beta
v_cmp_u_f32 s[34:35], v[vgprValuC+100], v[vgprValuC+100] // check Nan
v_bfe_u32 v6, v[vgprValuC+100], 16, 1              // Non-Nan case: store lsb of bf16
v_add3_u32 v6, v[vgprValuC+100], v6, v9            // Non-Nan case: add lsb and the increment for rounding
v_cndmask_b32 v[vgprValuC+100], v6, v8, s[34:35]   // 
v_lshrrev_b32 v[vgprValuC+100], 16, v[vgprValuC+100] // convert C to bf16
v_cmp_u_f32 s[34:35], v[vgprValuC+101], v[vgprValuC+101] // check Nan
v_bfe_u32 v6, v[vgprValuC+101], 16, 1              // Non-Nan case: store lsb of bf16
v_add3_u32 v6, v[vgprValuC+101], v6, v9            // Non-Nan case: add lsb and the increment for rounding
v_cndmask_b32 v[vgprValuC+101], v6, v8, s[34:35]   // 
v_and_or_b32 v100, v[vgprValuC+101], v7, v[vgprValuC+100] // pack two bf16 to dword
v_cmp_u_f32 s[34:35], v[vgprValuC+102], v[vgprValuC+102] // check Nan
v_bfe_u32 v6, v[vgprValuC+102], 16, 1              // Non-Nan case: store lsb of bf16
v_add3_u32 v6, v[vgprValuC+102], v6, v9            // Non-Nan case: add lsb and the increment for rounding
v_cndmask_b32 v[vgprValuC+102], v6, v8, s[34:35]   // 
v_lshrrev_b32 v[vgprValuC+102], 16, v[vgprValuC+102] // convert C to bf16
v_cmp_u_f32 s[34:35], v[vgprValuC+103], v[vgprValuC+103] // check Nan
v_bfe_u32 v6, v[vgprValuC+103], 16, 1              // Non-Nan case: store lsb of bf16
v_add3_u32 v6, v[vgprValuC+103], v6, v9            // Non-Nan case: add lsb and the increment for rounding
v_cndmask_b32 v[vgprValuC+103], v6, v8, s[34:35]   // 
v_and_or_b32 v101, v[vgprValuC+103], v7, v[vgprValuC+102] // pack two bf16 to dword
s_lshl_b32  s34, s[sgprStrideD1J], 1               // incToNextRow: Scale by BPE
s_add_u32  s[sgprSrdD+0], s[sgprSrdD+0], s34       // incToNextRow: gra SRD += inc(lower)
s_addc_u32  s[sgprSrdD+1], s[sgprSrdD+1], 0        // incToNextRow: gra SRD += inc(upper)
_buffer_store_b64 v[100:101], v10, s[sgprSrdD:sgprSrdD+3], 0, offen, offset:0,  sc0 sc1 // store D

s_waitcnt vmcnt(39)                                // wait C (interleaved) 39 = 40 - 15 + 15 - 1
v_lshlrev_b32 v4, 16, v98                          // convert bf16 to fp32
_v_mac_f32 v[vgprValuC+104], v4, s[sgprBeta]       // finalSum = sum*alpha + C*beta
v_and_b32 v4, v98, v7                              // convert bf16 to fp32
_v_mac_f32 v[vgprValuC+105], v4, s[sgprBeta]       // finalSum = sum*alpha + C*beta
v_lshlrev_b32 v4, 16, v99                          // convert bf16 to fp32
_v_mac_f32 v[vgprValuC+106], v4, s[sgprBeta]       // finalSum = sum*alpha + C*beta
v_and_b32 v4, v99, v7                              // convert bf16 to fp32
_v_mac_f32 v[vgprValuC+107], v4, s[sgprBeta]       // finalSum = sum*alpha + C*beta
v_cmp_u_f32 s[34:35], v[vgprValuC+104], v[vgprValuC+104] // check Nan
v_bfe_u32 v6, v[vgprValuC+104], 16, 1              // Non-Nan case: store lsb of bf16
v_add3_u32 v6, v[vgprValuC+104], v6, v9            // Non-Nan case: add lsb and the increment for rounding
v_cndmask_b32 v[vgprValuC+104], v6, v8, s[34:35]   // 
v_lshrrev_b32 v[vgprValuC+104], 16, v[vgprValuC+104] // convert C to bf16
v_cmp_u_f32 s[34:35], v[vgprValuC+105], v[vgprValuC+105] // check Nan
v_bfe_u32 v6, v[vgprValuC+105], 16, 1              // Non-Nan case: store lsb of bf16
v_add3_u32 v6, v[vgprValuC+105], v6, v9            // Non-Nan case: add lsb and the increment for rounding
v_cndmask_b32 v[vgprValuC+105], v6, v8, s[34:35]   // 
v_and_or_b32 v104, v[vgprValuC+105], v7, v[vgprValuC+104] // pack two bf16 to dword
v_cmp_u_f32 s[34:35], v[vgprValuC+106], v[vgprValuC+106] // check Nan
v_bfe_u32 v6, v[vgprValuC+106], 16, 1              // Non-Nan case: store lsb of bf16
v_add3_u32 v6, v[vgprValuC+106], v6, v9            // Non-Nan case: add lsb and the increment for rounding
v_cndmask_b32 v[vgprValuC+106], v6, v8, s[34:35]   // 
v_lshrrev_b32 v[vgprValuC+106], 16, v[vgprValuC+106] // convert C to bf16
v_cmp_u_f32 s[34:35], v[vgprValuC+107], v[vgprValuC+107] // check Nan
v_bfe_u32 v6, v[vgprValuC+107], 16, 1              // Non-Nan case: store lsb of bf16
v_add3_u32 v6, v[vgprValuC+107], v6, v9            // Non-Nan case: add lsb and the increment for rounding
v_cndmask_b32 v[vgprValuC+107], v6, v8, s[34:35]   // 
v_and_or_b32 v105, v[vgprValuC+107], v7, v[vgprValuC+106] // pack two bf16 to dword
s_lshl_b32  s34, s[sgprStrideD1J], 1               // incToNextRow: Scale by BPE
s_add_u32  s[sgprSrdD+0], s[sgprSrdD+0], s34       // incToNextRow: gra SRD += inc(lower)
s_addc_u32  s[sgprSrdD+1], s[sgprSrdD+1], 0        // incToNextRow: gra SRD += inc(upper)
_buffer_store_b64 v[104:105], v10, s[sgprSrdD:sgprSrdD+3], 0, offen, offset:0,  sc0 sc1 // store D

s_waitcnt vmcnt(39)                                // wait C (interleaved) 39 = 40 - 16 + 16 - 1
v_lshlrev_b32 v4, 16, v108                         // convert bf16 to fp32
_v_mac_f32 v[vgprValuC+112], v4, s[sgprBeta]       // finalSum = sum*alpha + C*beta
v_and_b32 v4, v108, v7                             // convert bf16 to fp32
_v_mac_f32 v[vgprValuC+113], v4, s[sgprBeta]       // finalSum = sum*alpha + C*beta
v_lshlrev_b32 v4, 16, v109                         // convert bf16 to fp32
_v_mac_f32 v[vgprValuC+114], v4, s[sgprBeta]       // finalSum = sum*alpha + C*beta
v_and_b32 v4, v109, v7                             // convert bf16 to fp32
_v_mac_f32 v[vgprValuC+115], v4, s[sgprBeta]       // finalSum = sum*alpha + C*beta
v_cmp_u_f32 s[34:35], v[vgprValuC+112], v[vgprValuC+112] // check Nan
v_bfe_u32 v6, v[vgprValuC+112], 16, 1              // Non-Nan case: store lsb of bf16
v_add3_u32 v6, v[vgprValuC+112], v6, v9            // Non-Nan case: add lsb and the increment for rounding
v_cndmask_b32 v[vgprValuC+112], v6, v8, s[34:35]   // 
v_lshrrev_b32 v[vgprValuC+112], 16, v[vgprValuC+112] // convert C to bf16
v_cmp_u_f32 s[34:35], v[vgprValuC+113], v[vgprValuC+113] // check Nan
v_bfe_u32 v6, v[vgprValuC+113], 16, 1              // Non-Nan case: store lsb of bf16
v_add3_u32 v6, v[vgprValuC+113], v6, v9            // Non-Nan case: add lsb and the increment for rounding
v_cndmask_b32 v[vgprValuC+113], v6, v8, s[34:35]   // 
v_and_or_b32 v112, v[vgprValuC+113], v7, v[vgprValuC+112] // pack two bf16 to dword
v_cmp_u_f32 s[34:35], v[vgprValuC+114], v[vgprValuC+114] // check Nan
v_bfe_u32 v6, v[vgprValuC+114], 16, 1              // Non-Nan case: store lsb of bf16
v_add3_u32 v6, v[vgprValuC+114], v6, v9            // Non-Nan case: add lsb and the increment for rounding
v_cndmask_b32 v[vgprValuC+114], v6, v8, s[34:35]   // 
v_lshrrev_b32 v[vgprValuC+114], 16, v[vgprValuC+114] // convert C to bf16
v_cmp_u_f32 s[34:35], v[vgprValuC+115], v[vgprValuC+115] // check Nan
v_bfe_u32 v6, v[vgprValuC+115], 16, 1              // Non-Nan case: store lsb of bf16
v_add3_u32 v6, v[vgprValuC+115], v6, v9            // Non-Nan case: add lsb and the increment for rounding
v_cndmask_b32 v[vgprValuC+115], v6, v8, s[34:35]   // 
v_and_or_b32 v113, v[vgprValuC+115], v7, v[vgprValuC+114] // pack two bf16 to dword
s_mul_i32 s34, s[sgprStrideD1J], 50                // scale StrideD *= numRows(25) * bpe
s_add_u32  s[sgprSrdD+0], s[sgprSrdD+0], s34       // incToNextRow: gra SRD += inc(lower)
s_addc_u32  s[sgprSrdD+1], s[sgprSrdD+1], 0        // incToNextRow: gra SRD += inc(upper)
_buffer_store_b64 v[112:113], v10, s[sgprSrdD:sgprSrdD+3], 0, offen, offset:0,  sc0 sc1 // store D

s_waitcnt vmcnt(39)                                // wait C (interleaved) 39 = 40 - 17 + 17 - 1
v_lshlrev_b32 v4, 16, v110                         // convert bf16 to fp32
_v_mac_f32 v[vgprValuC+116], v4, s[sgprBeta]       // finalSum = sum*alpha + C*beta
v_and_b32 v4, v110, v7                             // convert bf16 to fp32
_v_mac_f32 v[vgprValuC+117], v4, s[sgprBeta]       // finalSum = sum*alpha + C*beta
v_lshlrev_b32 v4, 16, v111                         // convert bf16 to fp32
_v_mac_f32 v[vgprValuC+118], v4, s[sgprBeta]       // finalSum = sum*alpha + C*beta
v_and_b32 v4, v111, v7                             // convert bf16 to fp32
_v_mac_f32 v[vgprValuC+119], v4, s[sgprBeta]       // finalSum = sum*alpha + C*beta
v_cmp_u_f32 s[34:35], v[vgprValuC+116], v[vgprValuC+116] // check Nan
v_bfe_u32 v6, v[vgprValuC+116], 16, 1              // Non-Nan case: store lsb of bf16
v_add3_u32 v6, v[vgprValuC+116], v6, v9            // Non-Nan case: add lsb and the increment for rounding
v_cndmask_b32 v[vgprValuC+116], v6, v8, s[34:35]   // 
v_lshrrev_b32 v[vgprValuC+116], 16, v[vgprValuC+116] // convert C to bf16
v_cmp_u_f32 s[34:35], v[vgprValuC+117], v[vgprValuC+117] // check Nan
v_bfe_u32 v6, v[vgprValuC+117], 16, 1              // Non-Nan case: store lsb of bf16
v_add3_u32 v6, v[vgprValuC+117], v6, v9            // Non-Nan case: add lsb and the increment for rounding
v_cndmask_b32 v[vgprValuC+117], v6, v8, s[34:35]   // 
v_and_or_b32 v116, v[vgprValuC+117], v7, v[vgprValuC+116] // pack two bf16 to dword
v_cmp_u_f32 s[34:35], v[vgprValuC+118], v[vgprValuC+118] // check Nan
v_bfe_u32 v6, v[vgprValuC+118], 16, 1              // Non-Nan case: store lsb of bf16
v_add3_u32 v6, v[vgprValuC+118], v6, v9            // Non-Nan case: add lsb and the increment for rounding
v_cndmask_b32 v[vgprValuC+118], v6, v8, s[34:35]   // 
v_lshrrev_b32 v[vgprValuC+118], 16, v[vgprValuC+118] // convert C to bf16
v_cmp_u_f32 s[34:35], v[vgprValuC+119], v[vgprValuC+119] // check Nan
v_bfe_u32 v6, v[vgprValuC+119], 16, 1              // Non-Nan case: store lsb of bf16
v_add3_u32 v6, v[vgprValuC+119], v6, v9            // Non-Nan case: add lsb and the increment for rounding
v_cndmask_b32 v[vgprValuC+119], v6, v8, s[34:35]   // 
v_and_or_b32 v117, v[vgprValuC+119], v7, v[vgprValuC+118] // pack two bf16 to dword
s_lshl_b32  s34, s[sgprStrideD1J], 1               // incToNextRow: Scale by BPE
s_add_u32  s[sgprSrdD+0], s[sgprSrdD+0], s34       // incToNextRow: gra SRD += inc(lower)
s_addc_u32  s[sgprSrdD+1], s[sgprSrdD+1], 0        // incToNextRow: gra SRD += inc(upper)
_buffer_store_b64 v[116:117], v10, s[sgprSrdD:sgprSrdD+3], 0, offen, offset:0,  sc0 sc1 // store D

s_waitcnt vmcnt(39)                                // wait C (interleaved) 39 = 40 - 18 + 18 - 1
v_lshlrev_b32 v4, 16, v120                         // convert bf16 to fp32
_v_mac_f32 v[vgprValuC+124], v4, s[sgprBeta]       // finalSum = sum*alpha + C*beta
v_and_b32 v4, v120, v7                             // convert bf16 to fp32
_v_mac_f32 v[vgprValuC+125], v4, s[sgprBeta]       // finalSum = sum*alpha + C*beta
v_lshlrev_b32 v4, 16, v121                         // convert bf16 to fp32
_v_mac_f32 v[vgprValuC+126], v4, s[sgprBeta]       // finalSum = sum*alpha + C*beta
v_and_b32 v4, v121, v7                             // convert bf16 to fp32
_v_mac_f32 v[vgprValuC+127], v4, s[sgprBeta]       // finalSum = sum*alpha + C*beta
v_cmp_u_f32 s[34:35], v[vgprValuC+124], v[vgprValuC+124] // check Nan
v_bfe_u32 v6, v[vgprValuC+124], 16, 1              // Non-Nan case: store lsb of bf16
v_add3_u32 v6, v[vgprValuC+124], v6, v9            // Non-Nan case: add lsb and the increment for rounding
v_cndmask_b32 v[vgprValuC+124], v6, v8, s[34:35]   // 
v_lshrrev_b32 v[vgprValuC+124], 16, v[vgprValuC+124] // convert C to bf16
v_cmp_u_f32 s[34:35], v[vgprValuC+125], v[vgprValuC+125] // check Nan
v_bfe_u32 v6, v[vgprValuC+125], 16, 1              // Non-Nan case: store lsb of bf16
v_add3_u32 v6, v[vgprValuC+125], v6, v9            // Non-Nan case: add lsb and the increment for rounding
v_cndmask_b32 v[vgprValuC+125], v6, v8, s[34:35]   // 
v_and_or_b32 v124, v[vgprValuC+125], v7, v[vgprValuC+124] // pack two bf16 to dword
v_cmp_u_f32 s[34:35], v[vgprValuC+126], v[vgprValuC+126] // check Nan
v_bfe_u32 v6, v[vgprValuC+126], 16, 1              // Non-Nan case: store lsb of bf16
v_add3_u32 v6, v[vgprValuC+126], v6, v9            // Non-Nan case: add lsb and the increment for rounding
v_cndmask_b32 v[vgprValuC+126], v6, v8, s[34:35]   // 
v_lshrrev_b32 v[vgprValuC+126], 16, v[vgprValuC+126] // convert C to bf16
v_cmp_u_f32 s[34:35], v[vgprValuC+127], v[vgprValuC+127] // check Nan
v_bfe_u32 v6, v[vgprValuC+127], 16, 1              // Non-Nan case: store lsb of bf16
v_add3_u32 v6, v[vgprValuC+127], v6, v9            // Non-Nan case: add lsb and the increment for rounding
v_cndmask_b32 v[vgprValuC+127], v6, v8, s[34:35]   // 
v_and_or_b32 v125, v[vgprValuC+127], v7, v[vgprValuC+126] // pack two bf16 to dword
s_lshl_b32  s34, s[sgprStrideD1J], 1               // incToNextRow: Scale by BPE
	;; [unrolled: 34-line block ×7, first 2 shown]
s_add_u32  s[sgprSrdD+0], s[sgprSrdD+0], s34       // incToNextRow: gra SRD += inc(lower)
s_addc_u32  s[sgprSrdD+1], s[sgprSrdD+1], 0        // incToNextRow: gra SRD += inc(upper)
_buffer_store_b64 v[152:153], v10, s[sgprSrdD:sgprSrdD+3], 0, offen, offset:0,  sc0 sc1 // store D

s_waitcnt vmcnt(39)                                // wait C (interleaved) 39 = 40 - 24 + 24 - 1
v_lshlrev_b32 v4, 16, v156                         // convert bf16 to fp32
_v_mac_f32 v[vgprValuC+160], v4, s[sgprBeta]       // finalSum = sum*alpha + C*beta
v_and_b32 v4, v156, v7                             // convert bf16 to fp32
_v_mac_f32 v[vgprValuC+161], v4, s[sgprBeta]       // finalSum = sum*alpha + C*beta
v_lshlrev_b32 v4, 16, v157                         // convert bf16 to fp32
_v_mac_f32 v[vgprValuC+162], v4, s[sgprBeta]       // finalSum = sum*alpha + C*beta
v_and_b32 v4, v157, v7                             // convert bf16 to fp32
_v_mac_f32 v[vgprValuC+163], v4, s[sgprBeta]       // finalSum = sum*alpha + C*beta
v_cmp_u_f32 s[34:35], v[vgprValuC+160], v[vgprValuC+160] // check Nan
v_bfe_u32 v6, v[vgprValuC+160], 16, 1              // Non-Nan case: store lsb of bf16
v_add3_u32 v6, v[vgprValuC+160], v6, v9            // Non-Nan case: add lsb and the increment for rounding
v_cndmask_b32 v[vgprValuC+160], v6, v8, s[34:35]   // 
v_lshrrev_b32 v[vgprValuC+160], 16, v[vgprValuC+160] // convert C to bf16
v_cmp_u_f32 s[34:35], v[vgprValuC+161], v[vgprValuC+161] // check Nan
v_bfe_u32 v6, v[vgprValuC+161], 16, 1              // Non-Nan case: store lsb of bf16
v_add3_u32 v6, v[vgprValuC+161], v6, v9            // Non-Nan case: add lsb and the increment for rounding
v_cndmask_b32 v[vgprValuC+161], v6, v8, s[34:35]   // 
v_and_or_b32 v160, v[vgprValuC+161], v7, v[vgprValuC+160] // pack two bf16 to dword
v_cmp_u_f32 s[34:35], v[vgprValuC+162], v[vgprValuC+162] // check Nan
v_bfe_u32 v6, v[vgprValuC+162], 16, 1              // Non-Nan case: store lsb of bf16
v_add3_u32 v6, v[vgprValuC+162], v6, v9            // Non-Nan case: add lsb and the increment for rounding
v_cndmask_b32 v[vgprValuC+162], v6, v8, s[34:35]   // 
v_lshrrev_b32 v[vgprValuC+162], 16, v[vgprValuC+162] // convert C to bf16
v_cmp_u_f32 s[34:35], v[vgprValuC+163], v[vgprValuC+163] // check Nan
v_bfe_u32 v6, v[vgprValuC+163], 16, 1              // Non-Nan case: store lsb of bf16
v_add3_u32 v6, v[vgprValuC+163], v6, v9            // Non-Nan case: add lsb and the increment for rounding
v_cndmask_b32 v[vgprValuC+163], v6, v8, s[34:35]   // 
v_and_or_b32 v161, v[vgprValuC+163], v7, v[vgprValuC+162] // pack two bf16 to dword
s_mul_i32 s34, s[sgprStrideD1J], 50                // scale StrideD *= numRows(25) * bpe
s_add_u32  s[sgprSrdD+0], s[sgprSrdD+0], s34       // incToNextRow: gra SRD += inc(lower)
s_addc_u32  s[sgprSrdD+1], s[sgprSrdD+1], 0        // incToNextRow: gra SRD += inc(upper)
_buffer_store_b64 v[160:161], v10, s[sgprSrdD:sgprSrdD+3], 0, offen, offset:0,  sc0 sc1 // store D

s_waitcnt vmcnt(39)                                // wait C (interleaved) 39 = 40 - 25 + 25 - 1
v_lshlrev_b32 v4, 16, v158                         // convert bf16 to fp32
_v_mac_f32 v[vgprValuC+164], v4, s[sgprBeta]       // finalSum = sum*alpha + C*beta
v_and_b32 v4, v158, v7                             // convert bf16 to fp32
_v_mac_f32 v[vgprValuC+165], v4, s[sgprBeta]       // finalSum = sum*alpha + C*beta
v_lshlrev_b32 v4, 16, v159                         // convert bf16 to fp32
_v_mac_f32 v[vgprValuC+166], v4, s[sgprBeta]       // finalSum = sum*alpha + C*beta
v_and_b32 v4, v159, v7                             // convert bf16 to fp32
_v_mac_f32 v[vgprValuC+167], v4, s[sgprBeta]       // finalSum = sum*alpha + C*beta
v_cmp_u_f32 s[34:35], v[vgprValuC+164], v[vgprValuC+164] // check Nan
v_bfe_u32 v6, v[vgprValuC+164], 16, 1              // Non-Nan case: store lsb of bf16
v_add3_u32 v6, v[vgprValuC+164], v6, v9            // Non-Nan case: add lsb and the increment for rounding
v_cndmask_b32 v[vgprValuC+164], v6, v8, s[34:35]   // 
v_lshrrev_b32 v[vgprValuC+164], 16, v[vgprValuC+164] // convert C to bf16
v_cmp_u_f32 s[34:35], v[vgprValuC+165], v[vgprValuC+165] // check Nan
v_bfe_u32 v6, v[vgprValuC+165], 16, 1              // Non-Nan case: store lsb of bf16
v_add3_u32 v6, v[vgprValuC+165], v6, v9            // Non-Nan case: add lsb and the increment for rounding
v_cndmask_b32 v[vgprValuC+165], v6, v8, s[34:35]   // 
v_and_or_b32 v164, v[vgprValuC+165], v7, v[vgprValuC+164] // pack two bf16 to dword
v_cmp_u_f32 s[34:35], v[vgprValuC+166], v[vgprValuC+166] // check Nan
v_bfe_u32 v6, v[vgprValuC+166], 16, 1              // Non-Nan case: store lsb of bf16
v_add3_u32 v6, v[vgprValuC+166], v6, v9            // Non-Nan case: add lsb and the increment for rounding
v_cndmask_b32 v[vgprValuC+166], v6, v8, s[34:35]   // 
v_lshrrev_b32 v[vgprValuC+166], 16, v[vgprValuC+166] // convert C to bf16
v_cmp_u_f32 s[34:35], v[vgprValuC+167], v[vgprValuC+167] // check Nan
v_bfe_u32 v6, v[vgprValuC+167], 16, 1              // Non-Nan case: store lsb of bf16
v_add3_u32 v6, v[vgprValuC+167], v6, v9            // Non-Nan case: add lsb and the increment for rounding
v_cndmask_b32 v[vgprValuC+167], v6, v8, s[34:35]   // 
v_and_or_b32 v165, v[vgprValuC+167], v7, v[vgprValuC+166] // pack two bf16 to dword
s_lshl_b32  s34, s[sgprStrideD1J], 1               // incToNextRow: Scale by BPE
s_add_u32  s[sgprSrdD+0], s[sgprSrdD+0], s34       // incToNextRow: gra SRD += inc(lower)
s_addc_u32  s[sgprSrdD+1], s[sgprSrdD+1], 0        // incToNextRow: gra SRD += inc(upper)
_buffer_store_b64 v[164:165], v10, s[sgprSrdD:sgprSrdD+3], 0, offen, offset:0,  sc0 sc1 // store D

s_waitcnt vmcnt(39)                                // wait C (interleaved) 39 = 40 - 26 + 26 - 1
v_lshlrev_b32 v4, 16, v168                         // convert bf16 to fp32
_v_mac_f32 v[vgprValuC+172], v4, s[sgprBeta]       // finalSum = sum*alpha + C*beta
v_and_b32 v4, v168, v7                             // convert bf16 to fp32
_v_mac_f32 v[vgprValuC+173], v4, s[sgprBeta]       // finalSum = sum*alpha + C*beta
v_lshlrev_b32 v4, 16, v169                         // convert bf16 to fp32
_v_mac_f32 v[vgprValuC+174], v4, s[sgprBeta]       // finalSum = sum*alpha + C*beta
v_and_b32 v4, v169, v7                             // convert bf16 to fp32
_v_mac_f32 v[vgprValuC+175], v4, s[sgprBeta]       // finalSum = sum*alpha + C*beta
v_cmp_u_f32 s[34:35], v[vgprValuC+172], v[vgprValuC+172] // check Nan
v_bfe_u32 v6, v[vgprValuC+172], 16, 1              // Non-Nan case: store lsb of bf16
v_add3_u32 v6, v[vgprValuC+172], v6, v9            // Non-Nan case: add lsb and the increment for rounding
v_cndmask_b32 v[vgprValuC+172], v6, v8, s[34:35]   // 
v_lshrrev_b32 v[vgprValuC+172], 16, v[vgprValuC+172] // convert C to bf16
v_cmp_u_f32 s[34:35], v[vgprValuC+173], v[vgprValuC+173] // check Nan
v_bfe_u32 v6, v[vgprValuC+173], 16, 1              // Non-Nan case: store lsb of bf16
v_add3_u32 v6, v[vgprValuC+173], v6, v9            // Non-Nan case: add lsb and the increment for rounding
v_cndmask_b32 v[vgprValuC+173], v6, v8, s[34:35]   // 
v_and_or_b32 v172, v[vgprValuC+173], v7, v[vgprValuC+172] // pack two bf16 to dword
v_cmp_u_f32 s[34:35], v[vgprValuC+174], v[vgprValuC+174] // check Nan
v_bfe_u32 v6, v[vgprValuC+174], 16, 1              // Non-Nan case: store lsb of bf16
v_add3_u32 v6, v[vgprValuC+174], v6, v9            // Non-Nan case: add lsb and the increment for rounding
v_cndmask_b32 v[vgprValuC+174], v6, v8, s[34:35]   // 
v_lshrrev_b32 v[vgprValuC+174], 16, v[vgprValuC+174] // convert C to bf16
v_cmp_u_f32 s[34:35], v[vgprValuC+175], v[vgprValuC+175] // check Nan
v_bfe_u32 v6, v[vgprValuC+175], 16, 1              // Non-Nan case: store lsb of bf16
v_add3_u32 v6, v[vgprValuC+175], v6, v9            // Non-Nan case: add lsb and the increment for rounding
v_cndmask_b32 v[vgprValuC+175], v6, v8, s[34:35]   // 
v_and_or_b32 v173, v[vgprValuC+175], v7, v[vgprValuC+174] // pack two bf16 to dword
s_lshl_b32  s34, s[sgprStrideD1J], 1               // incToNextRow: Scale by BPE
	;; [unrolled: 34-line block ×7, first 2 shown]
s_add_u32  s[sgprSrdD+0], s[sgprSrdD+0], s34       // incToNextRow: gra SRD += inc(lower)
s_addc_u32  s[sgprSrdD+1], s[sgprSrdD+1], 0        // incToNextRow: gra SRD += inc(upper)
_buffer_store_b64 v[200:201], v10, s[sgprSrdD:sgprSrdD+3], 0, offen, offset:0,  sc0 sc1 // store D

s_waitcnt vmcnt(39)                                // wait C (interleaved) 39 = 40 - 32 + 32 - 1
v_lshlrev_b32 v4, 16, v204                         // convert bf16 to fp32
_v_mac_f32 v[vgprValuC+208], v4, s[sgprBeta]       // finalSum = sum*alpha + C*beta
v_and_b32 v4, v204, v7                             // convert bf16 to fp32
_v_mac_f32 v[vgprValuC+209], v4, s[sgprBeta]       // finalSum = sum*alpha + C*beta
v_lshlrev_b32 v4, 16, v205                         // convert bf16 to fp32
_v_mac_f32 v[vgprValuC+210], v4, s[sgprBeta]       // finalSum = sum*alpha + C*beta
v_and_b32 v4, v205, v7                             // convert bf16 to fp32
_v_mac_f32 v[vgprValuC+211], v4, s[sgprBeta]       // finalSum = sum*alpha + C*beta
v_cmp_u_f32 s[34:35], v[vgprValuC+208], v[vgprValuC+208] // check Nan
v_bfe_u32 v6, v[vgprValuC+208], 16, 1              // Non-Nan case: store lsb of bf16
v_add3_u32 v6, v[vgprValuC+208], v6, v9            // Non-Nan case: add lsb and the increment for rounding
v_cndmask_b32 v[vgprValuC+208], v6, v8, s[34:35]   // 
v_lshrrev_b32 v[vgprValuC+208], 16, v[vgprValuC+208] // convert C to bf16
v_cmp_u_f32 s[34:35], v[vgprValuC+209], v[vgprValuC+209] // check Nan
v_bfe_u32 v6, v[vgprValuC+209], 16, 1              // Non-Nan case: store lsb of bf16
v_add3_u32 v6, v[vgprValuC+209], v6, v9            // Non-Nan case: add lsb and the increment for rounding
v_cndmask_b32 v[vgprValuC+209], v6, v8, s[34:35]   // 
v_and_or_b32 v208, v[vgprValuC+209], v7, v[vgprValuC+208] // pack two bf16 to dword
v_cmp_u_f32 s[34:35], v[vgprValuC+210], v[vgprValuC+210] // check Nan
v_bfe_u32 v6, v[vgprValuC+210], 16, 1              // Non-Nan case: store lsb of bf16
v_add3_u32 v6, v[vgprValuC+210], v6, v9            // Non-Nan case: add lsb and the increment for rounding
v_cndmask_b32 v[vgprValuC+210], v6, v8, s[34:35]   // 
v_lshrrev_b32 v[vgprValuC+210], 16, v[vgprValuC+210] // convert C to bf16
v_cmp_u_f32 s[34:35], v[vgprValuC+211], v[vgprValuC+211] // check Nan
v_bfe_u32 v6, v[vgprValuC+211], 16, 1              // Non-Nan case: store lsb of bf16
v_add3_u32 v6, v[vgprValuC+211], v6, v9            // Non-Nan case: add lsb and the increment for rounding
v_cndmask_b32 v[vgprValuC+211], v6, v8, s[34:35]   // 
v_and_or_b32 v209, v[vgprValuC+211], v7, v[vgprValuC+210] // pack two bf16 to dword
s_mul_i32 s34, s[sgprStrideD1J], 50                // scale StrideD *= numRows(25) * bpe
s_add_u32  s[sgprSrdD+0], s[sgprSrdD+0], s34       // incToNextRow: gra SRD += inc(lower)
s_addc_u32  s[sgprSrdD+1], s[sgprSrdD+1], 0        // incToNextRow: gra SRD += inc(upper)
_buffer_store_b64 v[208:209], v10, s[sgprSrdD:sgprSrdD+3], 0, offen, offset:0,  sc0 sc1 // store D

s_waitcnt vmcnt(39)                                // wait C (interleaved) 39 = 40 - 33 + 33 - 1
v_lshlrev_b32 v4, 16, v206                         // convert bf16 to fp32
_v_mac_f32 v[vgprValuC+212], v4, s[sgprBeta]       // finalSum = sum*alpha + C*beta
v_and_b32 v4, v206, v7                             // convert bf16 to fp32
_v_mac_f32 v[vgprValuC+213], v4, s[sgprBeta]       // finalSum = sum*alpha + C*beta
v_lshlrev_b32 v4, 16, v207                         // convert bf16 to fp32
_v_mac_f32 v[vgprValuC+214], v4, s[sgprBeta]       // finalSum = sum*alpha + C*beta
v_and_b32 v4, v207, v7                             // convert bf16 to fp32
_v_mac_f32 v[vgprValuC+215], v4, s[sgprBeta]       // finalSum = sum*alpha + C*beta
v_cmp_u_f32 s[34:35], v[vgprValuC+212], v[vgprValuC+212] // check Nan
v_bfe_u32 v6, v[vgprValuC+212], 16, 1              // Non-Nan case: store lsb of bf16
v_add3_u32 v6, v[vgprValuC+212], v6, v9            // Non-Nan case: add lsb and the increment for rounding
v_cndmask_b32 v[vgprValuC+212], v6, v8, s[34:35]   // 
v_lshrrev_b32 v[vgprValuC+212], 16, v[vgprValuC+212] // convert C to bf16
v_cmp_u_f32 s[34:35], v[vgprValuC+213], v[vgprValuC+213] // check Nan
v_bfe_u32 v6, v[vgprValuC+213], 16, 1              // Non-Nan case: store lsb of bf16
v_add3_u32 v6, v[vgprValuC+213], v6, v9            // Non-Nan case: add lsb and the increment for rounding
v_cndmask_b32 v[vgprValuC+213], v6, v8, s[34:35]   // 
v_and_or_b32 v212, v[vgprValuC+213], v7, v[vgprValuC+212] // pack two bf16 to dword
v_cmp_u_f32 s[34:35], v[vgprValuC+214], v[vgprValuC+214] // check Nan
v_bfe_u32 v6, v[vgprValuC+214], 16, 1              // Non-Nan case: store lsb of bf16
v_add3_u32 v6, v[vgprValuC+214], v6, v9            // Non-Nan case: add lsb and the increment for rounding
v_cndmask_b32 v[vgprValuC+214], v6, v8, s[34:35]   // 
v_lshrrev_b32 v[vgprValuC+214], 16, v[vgprValuC+214] // convert C to bf16
v_cmp_u_f32 s[34:35], v[vgprValuC+215], v[vgprValuC+215] // check Nan
v_bfe_u32 v6, v[vgprValuC+215], 16, 1              // Non-Nan case: store lsb of bf16
v_add3_u32 v6, v[vgprValuC+215], v6, v9            // Non-Nan case: add lsb and the increment for rounding
v_cndmask_b32 v[vgprValuC+215], v6, v8, s[34:35]   // 
v_and_or_b32 v213, v[vgprValuC+215], v7, v[vgprValuC+214] // pack two bf16 to dword
s_lshl_b32  s34, s[sgprStrideD1J], 1               // incToNextRow: Scale by BPE
s_add_u32  s[sgprSrdD+0], s[sgprSrdD+0], s34       // incToNextRow: gra SRD += inc(lower)
s_addc_u32  s[sgprSrdD+1], s[sgprSrdD+1], 0        // incToNextRow: gra SRD += inc(upper)
_buffer_store_b64 v[212:213], v10, s[sgprSrdD:sgprSrdD+3], 0, offen, offset:0,  sc0 sc1 // store D

s_waitcnt vmcnt(39)                                // wait C (interleaved) 39 = 40 - 34 + 34 - 1
v_lshlrev_b32 v4, 16, v216                         // convert bf16 to fp32
_v_mac_f32 v[vgprValuC+220], v4, s[sgprBeta]       // finalSum = sum*alpha + C*beta
v_and_b32 v4, v216, v7                             // convert bf16 to fp32
_v_mac_f32 v[vgprValuC+221], v4, s[sgprBeta]       // finalSum = sum*alpha + C*beta
v_lshlrev_b32 v4, 16, v217                         // convert bf16 to fp32
_v_mac_f32 v[vgprValuC+222], v4, s[sgprBeta]       // finalSum = sum*alpha + C*beta
v_and_b32 v4, v217, v7                             // convert bf16 to fp32
_v_mac_f32 v[vgprValuC+223], v4, s[sgprBeta]       // finalSum = sum*alpha + C*beta
v_cmp_u_f32 s[34:35], v[vgprValuC+220], v[vgprValuC+220] // check Nan
v_bfe_u32 v6, v[vgprValuC+220], 16, 1              // Non-Nan case: store lsb of bf16
v_add3_u32 v6, v[vgprValuC+220], v6, v9            // Non-Nan case: add lsb and the increment for rounding
v_cndmask_b32 v[vgprValuC+220], v6, v8, s[34:35]   // 
v_lshrrev_b32 v[vgprValuC+220], 16, v[vgprValuC+220] // convert C to bf16
v_cmp_u_f32 s[34:35], v[vgprValuC+221], v[vgprValuC+221] // check Nan
v_bfe_u32 v6, v[vgprValuC+221], 16, 1              // Non-Nan case: store lsb of bf16
v_add3_u32 v6, v[vgprValuC+221], v6, v9            // Non-Nan case: add lsb and the increment for rounding
v_cndmask_b32 v[vgprValuC+221], v6, v8, s[34:35]   // 
v_and_or_b32 v220, v[vgprValuC+221], v7, v[vgprValuC+220] // pack two bf16 to dword
v_cmp_u_f32 s[34:35], v[vgprValuC+222], v[vgprValuC+222] // check Nan
v_bfe_u32 v6, v[vgprValuC+222], 16, 1              // Non-Nan case: store lsb of bf16
v_add3_u32 v6, v[vgprValuC+222], v6, v9            // Non-Nan case: add lsb and the increment for rounding
v_cndmask_b32 v[vgprValuC+222], v6, v8, s[34:35]   // 
v_lshrrev_b32 v[vgprValuC+222], 16, v[vgprValuC+222] // convert C to bf16
v_cmp_u_f32 s[34:35], v[vgprValuC+223], v[vgprValuC+223] // check Nan
v_bfe_u32 v6, v[vgprValuC+223], 16, 1              // Non-Nan case: store lsb of bf16
v_add3_u32 v6, v[vgprValuC+223], v6, v9            // Non-Nan case: add lsb and the increment for rounding
v_cndmask_b32 v[vgprValuC+223], v6, v8, s[34:35]   // 
v_and_or_b32 v221, v[vgprValuC+223], v7, v[vgprValuC+222] // pack two bf16 to dword
s_lshl_b32  s34, s[sgprStrideD1J], 1               // incToNextRow: Scale by BPE
	;; [unrolled: 34-line block ×7, first 2 shown]
s_add_u32  s[sgprSrdD+0], s[sgprSrdD+0], s34       // incToNextRow: gra SRD += inc(lower)
s_addc_u32  s[sgprSrdD+1], s[sgprSrdD+1], 0        // incToNextRow: gra SRD += inc(upper)
_buffer_store_b64 v[252:253], v10, s[sgprSrdD:sgprSrdD+3], 0, offen, offset:0,  sc0 sc1 // store D
s_nop 0                                            // 1 wait state required when next inst writes vgprs held by previous dwordx4 store inst
/* optSingleColVgpr=1 optSharedColVgpr=0 optSGPRUsage=BufferLoad_Mask optSrdIncForRow=1 */

/******************************************/
/* Global Write Alpha Beta Batch #1 (d1,d0,vc1,vc0) = */
/*    (5,0,0,0:vw4); (5,0,1,0:vw4); (5,0,2,0:vw4); (5,0,3,0:vw4); (5,0,4,0:vw4); (5,0,5,0:vw4); (5,0,6,0:vw4); (5,0,7,0:vw4); (6,0,0,0:vw4); (6,0,1,0:vw4); (6,0,2,0:vw4); (6,0,3,0:vw4); (6,0,4,0:vw4); (6,0,5,0:vw4); (6,0,6,0:vw4); (6,0,7,0:vw4); (7,0,0,0:vw4); (7,0,1,0:vw4); (7,0,2,0:vw4); (7,0,3,0:vw4); (7,0,4,0:vw4); (7,0,5,0:vw4); (7,0,6,0:vw4); (7,0,7,0:vw4) */
/******************************************/

/* calc coords, apply mask, and issue loads (if necessary) */
/* (d1,vc1,d0,vc0)=(5,0,0,0) */
s_mul_i32 s34, s[sgprStrideC1J], 50                // scale StrideC *= numRows(25) * bpe
s_add_u32  s[sgprSrdC+0], s[sgprSrdC+0], s34       // incToNextRow: gra SRD += inc(lower)
s_addc_u32  s[sgprSrdC+1], s[sgprSrdC+1], 0        // incToNextRow: gra SRD += inc(upper)
_buffer_load_b64 v[12:13], v11, s[sgprSrdC:sgprSrdC+3], 0, offen offset:0,  sc0 sc1 // load C for beta calc
/* (d1,vc1,d0,vc0)=(5,1,0,0) */
s_lshl_b32  s34, s[sgprStrideC1J], 1               // incToNextRow: Scale by BPE
s_add_u32  s[sgprSrdC+0], s[sgprSrdC+0], s34       // incToNextRow: gra SRD += inc(lower)
s_addc_u32  s[sgprSrdC+1], s[sgprSrdC+1], 0        // incToNextRow: gra SRD += inc(upper)
_buffer_load_b64 v[14:15], v11, s[sgprSrdC:sgprSrdC+3], 0, offen offset:0,  sc0 sc1 // load C for beta calc
/* (d1,vc1,d0,vc0)=(5,2,0,0) */
s_lshl_b32  s34, s[sgprStrideC1J], 1               // incToNextRow: Scale by BPE
s_add_u32  s[sgprSrdC+0], s[sgprSrdC+0], s34       // incToNextRow: gra SRD += inc(lower)
s_addc_u32  s[sgprSrdC+1], s[sgprSrdC+1], 0        // incToNextRow: gra SRD += inc(upper)
_buffer_load_b64 v[24:25], v11, s[sgprSrdC:sgprSrdC+3], 0, offen offset:0,  sc0 sc1 // load C for beta calc
/* (d1,vc1,d0,vc0)=(5,3,0,0) */
s_lshl_b32  s34, s[sgprStrideC1J], 1               // incToNextRow: Scale by BPE
s_add_u32  s[sgprSrdC+0], s[sgprSrdC+0], s34       // incToNextRow: gra SRD += inc(lower)
s_addc_u32  s[sgprSrdC+1], s[sgprSrdC+1], 0        // incToNextRow: gra SRD += inc(upper)
_buffer_load_b64 v[26:27], v11, s[sgprSrdC:sgprSrdC+3], 0, offen offset:0,  sc0 sc1 // load C for beta calc
/* (d1,vc1,d0,vc0)=(5,4,0,0) */
s_lshl_b32  s34, s[sgprStrideC1J], 1               // incToNextRow: Scale by BPE
s_add_u32  s[sgprSrdC+0], s[sgprSrdC+0], s34       // incToNextRow: gra SRD += inc(lower)
s_addc_u32  s[sgprSrdC+1], s[sgprSrdC+1], 0        // incToNextRow: gra SRD += inc(upper)
_buffer_load_b64 v[36:37], v11, s[sgprSrdC:sgprSrdC+3], 0, offen offset:0,  sc0 sc1 // load C for beta calc
/* (d1,vc1,d0,vc0)=(5,5,0,0) */
s_lshl_b32  s34, s[sgprStrideC1J], 1               // incToNextRow: Scale by BPE
s_add_u32  s[sgprSrdC+0], s[sgprSrdC+0], s34       // incToNextRow: gra SRD += inc(lower)
s_addc_u32  s[sgprSrdC+1], s[sgprSrdC+1], 0        // incToNextRow: gra SRD += inc(upper)
_buffer_load_b64 v[38:39], v11, s[sgprSrdC:sgprSrdC+3], 0, offen offset:0,  sc0 sc1 // load C for beta calc
/* (d1,vc1,d0,vc0)=(5,6,0,0) */
s_lshl_b32  s34, s[sgprStrideC1J], 1               // incToNextRow: Scale by BPE
s_add_u32  s[sgprSrdC+0], s[sgprSrdC+0], s34       // incToNextRow: gra SRD += inc(lower)
s_addc_u32  s[sgprSrdC+1], s[sgprSrdC+1], 0        // incToNextRow: gra SRD += inc(upper)
_buffer_load_b64 v[48:49], v11, s[sgprSrdC:sgprSrdC+3], 0, offen offset:0,  sc0 sc1 // load C for beta calc
/* (d1,vc1,d0,vc0)=(5,7,0,0) */
s_lshl_b32  s34, s[sgprStrideC1J], 1               // incToNextRow: Scale by BPE
s_add_u32  s[sgprSrdC+0], s[sgprSrdC+0], s34       // incToNextRow: gra SRD += inc(lower)
s_addc_u32  s[sgprSrdC+1], s[sgprSrdC+1], 0        // incToNextRow: gra SRD += inc(upper)
_buffer_load_b64 v[50:51], v11, s[sgprSrdC:sgprSrdC+3], 0, offen offset:0,  sc0 sc1 // load C for beta calc
/* (d1,vc1,d0,vc0)=(6,0,0,0) */
s_mul_i32 s34, s[sgprStrideC1J], 50                // scale StrideC *= numRows(25) * bpe
s_add_u32  s[sgprSrdC+0], s[sgprSrdC+0], s34       // incToNextRow: gra SRD += inc(lower)
s_addc_u32  s[sgprSrdC+1], s[sgprSrdC+1], 0        // incToNextRow: gra SRD += inc(upper)
_buffer_load_b64 v[60:61], v11, s[sgprSrdC:sgprSrdC+3], 0, offen offset:0,  sc0 sc1 // load C for beta calc
/* (d1,vc1,d0,vc0)=(6,1,0,0) */
s_lshl_b32  s34, s[sgprStrideC1J], 1               // incToNextRow: Scale by BPE
s_add_u32  s[sgprSrdC+0], s[sgprSrdC+0], s34       // incToNextRow: gra SRD += inc(lower)
s_addc_u32  s[sgprSrdC+1], s[sgprSrdC+1], 0        // incToNextRow: gra SRD += inc(upper)
_buffer_load_b64 v[62:63], v11, s[sgprSrdC:sgprSrdC+3], 0, offen offset:0,  sc0 sc1 // load C for beta calc
/* (d1,vc1,d0,vc0)=(6,2,0,0) */
s_lshl_b32  s34, s[sgprStrideC1J], 1               // incToNextRow: Scale by BPE
s_add_u32  s[sgprSrdC+0], s[sgprSrdC+0], s34       // incToNextRow: gra SRD += inc(lower)
s_addc_u32  s[sgprSrdC+1], s[sgprSrdC+1], 0        // incToNextRow: gra SRD += inc(upper)
_buffer_load_b64 v[72:73], v11, s[sgprSrdC:sgprSrdC+3], 0, offen offset:0,  sc0 sc1 // load C for beta calc
/* (d1,vc1,d0,vc0)=(6,3,0,0) */
s_lshl_b32  s34, s[sgprStrideC1J], 1               // incToNextRow: Scale by BPE
s_add_u32  s[sgprSrdC+0], s[sgprSrdC+0], s34       // incToNextRow: gra SRD += inc(lower)
s_addc_u32  s[sgprSrdC+1], s[sgprSrdC+1], 0        // incToNextRow: gra SRD += inc(upper)
_buffer_load_b64 v[74:75], v11, s[sgprSrdC:sgprSrdC+3], 0, offen offset:0,  sc0 sc1 // load C for beta calc
/* (d1,vc1,d0,vc0)=(6,4,0,0) */
s_lshl_b32  s34, s[sgprStrideC1J], 1               // incToNextRow: Scale by BPE
s_add_u32  s[sgprSrdC+0], s[sgprSrdC+0], s34       // incToNextRow: gra SRD += inc(lower)
s_addc_u32  s[sgprSrdC+1], s[sgprSrdC+1], 0        // incToNextRow: gra SRD += inc(upper)
_buffer_load_b64 v[84:85], v11, s[sgprSrdC:sgprSrdC+3], 0, offen offset:0,  sc0 sc1 // load C for beta calc
/* (d1,vc1,d0,vc0)=(6,5,0,0) */
s_lshl_b32  s34, s[sgprStrideC1J], 1               // incToNextRow: Scale by BPE
s_add_u32  s[sgprSrdC+0], s[sgprSrdC+0], s34       // incToNextRow: gra SRD += inc(lower)
s_addc_u32  s[sgprSrdC+1], s[sgprSrdC+1], 0        // incToNextRow: gra SRD += inc(upper)
_buffer_load_b64 v[86:87], v11, s[sgprSrdC:sgprSrdC+3], 0, offen offset:0,  sc0 sc1 // load C for beta calc
/* (d1,vc1,d0,vc0)=(6,6,0,0) */
s_lshl_b32  s34, s[sgprStrideC1J], 1               // incToNextRow: Scale by BPE
s_add_u32  s[sgprSrdC+0], s[sgprSrdC+0], s34       // incToNextRow: gra SRD += inc(lower)
s_addc_u32  s[sgprSrdC+1], s[sgprSrdC+1], 0        // incToNextRow: gra SRD += inc(upper)
_buffer_load_b64 v[96:97], v11, s[sgprSrdC:sgprSrdC+3], 0, offen offset:0,  sc0 sc1 // load C for beta calc
/* (d1,vc1,d0,vc0)=(6,7,0,0) */
s_lshl_b32  s34, s[sgprStrideC1J], 1               // incToNextRow: Scale by BPE
s_add_u32  s[sgprSrdC+0], s[sgprSrdC+0], s34       // incToNextRow: gra SRD += inc(lower)
s_addc_u32  s[sgprSrdC+1], s[sgprSrdC+1], 0        // incToNextRow: gra SRD += inc(upper)
_buffer_load_b64 v[98:99], v11, s[sgprSrdC:sgprSrdC+3], 0, offen offset:0,  sc0 sc1 // load C for beta calc
	;; [unrolled: 40-line block ×3, first 2 shown]
v_accvgpr_read_b32 v[vgprValuC+16], acc160 // copy acc to vreg[160]
v_accvgpr_read_b32 v[vgprValuC+17], acc164 // copy acc to vreg[161]
v_accvgpr_read_b32 v[vgprValuC+18], acc168 // copy acc to vreg[162]
v_accvgpr_read_b32 v[vgprValuC+19], acc172 // copy acc to vreg[163]
v_accvgpr_read_b32 v[vgprValuC+20], acc176 // copy acc to vreg[164]
v_accvgpr_read_b32 v[vgprValuC+21], acc180 // copy acc to vreg[165]
v_accvgpr_read_b32 v[vgprValuC+22], acc184 // copy acc to vreg[166]
v_accvgpr_read_b32 v[vgprValuC+23], acc188 // copy acc to vreg[167]
v_accvgpr_read_b32 v[vgprValuC+28], acc161 // copy acc to vreg[168]
v_accvgpr_read_b32 v[vgprValuC+29], acc165 // copy acc to vreg[169]
v_accvgpr_read_b32 v[vgprValuC+30], acc169 // copy acc to vreg[170]
v_accvgpr_read_b32 v[vgprValuC+31], acc173 // copy acc to vreg[171]
v_accvgpr_read_b32 v[vgprValuC+32], acc177 // copy acc to vreg[172]
v_accvgpr_read_b32 v[vgprValuC+33], acc181 // copy acc to vreg[173]
v_accvgpr_read_b32 v[vgprValuC+34], acc185 // copy acc to vreg[174]
v_accvgpr_read_b32 v[vgprValuC+35], acc189 // copy acc to vreg[175]
v_accvgpr_read_b32 v[vgprValuC+40], acc162 // copy acc to vreg[176]
v_accvgpr_read_b32 v[vgprValuC+41], acc166 // copy acc to vreg[177]
v_accvgpr_read_b32 v[vgprValuC+42], acc170 // copy acc to vreg[178]
v_accvgpr_read_b32 v[vgprValuC+43], acc174 // copy acc to vreg[179]
v_accvgpr_read_b32 v[vgprValuC+44], acc178 // copy acc to vreg[180]
v_accvgpr_read_b32 v[vgprValuC+45], acc182 // copy acc to vreg[181]
v_accvgpr_read_b32 v[vgprValuC+46], acc186 // copy acc to vreg[182]
v_accvgpr_read_b32 v[vgprValuC+47], acc190 // copy acc to vreg[183]
v_accvgpr_read_b32 v[vgprValuC+52], acc163 // copy acc to vreg[184]
v_accvgpr_read_b32 v[vgprValuC+53], acc167 // copy acc to vreg[185]
v_accvgpr_read_b32 v[vgprValuC+54], acc171 // copy acc to vreg[186]
v_accvgpr_read_b32 v[vgprValuC+55], acc175 // copy acc to vreg[187]
v_accvgpr_read_b32 v[vgprValuC+56], acc179 // copy acc to vreg[188]
v_accvgpr_read_b32 v[vgprValuC+57], acc183 // copy acc to vreg[189]
v_accvgpr_read_b32 v[vgprValuC+58], acc187 // copy acc to vreg[190]
v_accvgpr_read_b32 v[vgprValuC+59], acc191 // copy acc to vreg[191]
v_accvgpr_read_b32 v[vgprValuC+64], acc192 // copy acc to vreg[192]
v_accvgpr_read_b32 v[vgprValuC+65], acc196 // copy acc to vreg[193]
v_accvgpr_read_b32 v[vgprValuC+66], acc200 // copy acc to vreg[194]
v_accvgpr_read_b32 v[vgprValuC+67], acc204 // copy acc to vreg[195]
v_accvgpr_read_b32 v[vgprValuC+68], acc208 // copy acc to vreg[196]
v_accvgpr_read_b32 v[vgprValuC+69], acc212 // copy acc to vreg[197]
v_accvgpr_read_b32 v[vgprValuC+70], acc216 // copy acc to vreg[198]
v_accvgpr_read_b32 v[vgprValuC+71], acc220 // copy acc to vreg[199]
v_accvgpr_read_b32 v[vgprValuC+76], acc193 // copy acc to vreg[200]
v_accvgpr_read_b32 v[vgprValuC+77], acc197 // copy acc to vreg[201]
v_accvgpr_read_b32 v[vgprValuC+78], acc201 // copy acc to vreg[202]
v_accvgpr_read_b32 v[vgprValuC+79], acc205 // copy acc to vreg[203]
v_accvgpr_read_b32 v[vgprValuC+80], acc209 // copy acc to vreg[204]
v_accvgpr_read_b32 v[vgprValuC+81], acc213 // copy acc to vreg[205]
v_accvgpr_read_b32 v[vgprValuC+82], acc217 // copy acc to vreg[206]
v_accvgpr_read_b32 v[vgprValuC+83], acc221 // copy acc to vreg[207]
v_accvgpr_read_b32 v[vgprValuC+88], acc194 // copy acc to vreg[208]
v_accvgpr_read_b32 v[vgprValuC+89], acc198 // copy acc to vreg[209]
v_accvgpr_read_b32 v[vgprValuC+90], acc202 // copy acc to vreg[210]
v_accvgpr_read_b32 v[vgprValuC+91], acc206 // copy acc to vreg[211]
v_accvgpr_read_b32 v[vgprValuC+92], acc210 // copy acc to vreg[212]
v_accvgpr_read_b32 v[vgprValuC+93], acc214 // copy acc to vreg[213]
v_accvgpr_read_b32 v[vgprValuC+94], acc218 // copy acc to vreg[214]
v_accvgpr_read_b32 v[vgprValuC+95], acc222 // copy acc to vreg[215]
v_accvgpr_read_b32 v[vgprValuC+100], acc195 // copy acc to vreg[216]
v_accvgpr_read_b32 v[vgprValuC+101], acc199 // copy acc to vreg[217]
v_accvgpr_read_b32 v[vgprValuC+102], acc203 // copy acc to vreg[218]
v_accvgpr_read_b32 v[vgprValuC+103], acc207 // copy acc to vreg[219]
v_accvgpr_read_b32 v[vgprValuC+104], acc211 // copy acc to vreg[220]
v_accvgpr_read_b32 v[vgprValuC+105], acc215 // copy acc to vreg[221]
v_accvgpr_read_b32 v[vgprValuC+106], acc219 // copy acc to vreg[222]
v_accvgpr_read_b32 v[vgprValuC+107], acc223 // copy acc to vreg[223]
v_accvgpr_read_b32 v[vgprValuC+112], acc224 // copy acc to vreg[224]
v_accvgpr_read_b32 v[vgprValuC+113], acc228 // copy acc to vreg[225]
v_accvgpr_read_b32 v[vgprValuC+114], acc232 // copy acc to vreg[226]
v_accvgpr_read_b32 v[vgprValuC+115], acc236 // copy acc to vreg[227]
v_accvgpr_read_b32 v[vgprValuC+116], acc240 // copy acc to vreg[228]
v_accvgpr_read_b32 v[vgprValuC+117], acc244 // copy acc to vreg[229]
v_accvgpr_read_b32 v[vgprValuC+118], acc248 // copy acc to vreg[230]
v_accvgpr_read_b32 v[vgprValuC+119], acc252 // copy acc to vreg[231]
v_accvgpr_read_b32 v[vgprValuC+124], acc225 // copy acc to vreg[232]
v_accvgpr_read_b32 v[vgprValuC+125], acc229 // copy acc to vreg[233]
v_accvgpr_read_b32 v[vgprValuC+126], acc233 // copy acc to vreg[234]
v_accvgpr_read_b32 v[vgprValuC+127], acc237 // copy acc to vreg[235]
v_accvgpr_read_b32 v[vgprValuC+128], acc241 // copy acc to vreg[236]
v_accvgpr_read_b32 v[vgprValuC+129], acc245 // copy acc to vreg[237]
v_accvgpr_read_b32 v[vgprValuC+130], acc249 // copy acc to vreg[238]
v_accvgpr_read_b32 v[vgprValuC+131], acc253 // copy acc to vreg[239]
v_accvgpr_read_b32 v[vgprValuC+136], acc226 // copy acc to vreg[240]
v_accvgpr_read_b32 v[vgprValuC+137], acc230 // copy acc to vreg[241]
v_accvgpr_read_b32 v[vgprValuC+138], acc234 // copy acc to vreg[242]
v_accvgpr_read_b32 v[vgprValuC+139], acc238 // copy acc to vreg[243]
v_accvgpr_read_b32 v[vgprValuC+140], acc242 // copy acc to vreg[244]
v_accvgpr_read_b32 v[vgprValuC+141], acc246 // copy acc to vreg[245]
v_accvgpr_read_b32 v[vgprValuC+142], acc250 // copy acc to vreg[246]
v_accvgpr_read_b32 v[vgprValuC+143], acc254 // copy acc to vreg[247]
v_accvgpr_read_b32 v[vgprValuC+148], acc227 // copy acc to vreg[248]
v_accvgpr_read_b32 v[vgprValuC+149], acc231 // copy acc to vreg[249]
v_accvgpr_read_b32 v[vgprValuC+150], acc235 // copy acc to vreg[250]
v_accvgpr_read_b32 v[vgprValuC+151], acc239 // copy acc to vreg[251]
v_accvgpr_read_b32 v[vgprValuC+152], acc243 // copy acc to vreg[252]
v_accvgpr_read_b32 v[vgprValuC+153], acc247 // copy acc to vreg[253]
v_accvgpr_read_b32 v[vgprValuC+154], acc251 // copy acc to vreg[254]
v_accvgpr_read_b32 v[vgprValuC+155], acc255 // copy acc to vreg[255]
s_nop 1                                            // 2 wait states required before reading vgpr

/* rC *= alpha batchElements=[(5, 0, 0, 0), (5, 0, 1, 0), (5, 0, 2, 0), (5, 0, 3, 0), (5, 0, 4, 0), (5, 0, 5, 0), (5, 0, 6, 0), (5, 0, 7, 0), (6, 0, 0, 0), (6, 0, 1, 0), (6, 0, 2, 0), (6, 0, 3, 0), (6, 0, 4, 0), (6, 0, 5, 0), (6, 0, 6, 0), (6, 0, 7, 0), (7, 0, 0, 0), (7, 0, 1, 0), (7, 0, 2, 0), (7, 0, 3, 0), (7, 0, 4, 0), (7, 0, 5, 0), (7, 0, 6, 0), (7, 0, 7, 0)] */
v_mul_f32 v[vgprValuC+16], s[sgprAlpha], v[vgprValuC+16] // *= alpha
v_mul_f32 v[vgprValuC+17], s[sgprAlpha], v[vgprValuC+17] // *= alpha
v_mul_f32 v[vgprValuC+18], s[sgprAlpha], v[vgprValuC+18] // *= alpha
v_mul_f32 v[vgprValuC+19], s[sgprAlpha], v[vgprValuC+19] // *= alpha
v_mul_f32 v[vgprValuC+20], s[sgprAlpha], v[vgprValuC+20] // *= alpha
v_mul_f32 v[vgprValuC+21], s[sgprAlpha], v[vgprValuC+21] // *= alpha
v_mul_f32 v[vgprValuC+22], s[sgprAlpha], v[vgprValuC+22] // *= alpha
v_mul_f32 v[vgprValuC+23], s[sgprAlpha], v[vgprValuC+23] // *= alpha
v_mul_f32 v[vgprValuC+28], s[sgprAlpha], v[vgprValuC+28] // *= alpha
v_mul_f32 v[vgprValuC+29], s[sgprAlpha], v[vgprValuC+29] // *= alpha
v_mul_f32 v[vgprValuC+30], s[sgprAlpha], v[vgprValuC+30] // *= alpha
v_mul_f32 v[vgprValuC+31], s[sgprAlpha], v[vgprValuC+31] // *= alpha
v_mul_f32 v[vgprValuC+32], s[sgprAlpha], v[vgprValuC+32] // *= alpha
v_mul_f32 v[vgprValuC+33], s[sgprAlpha], v[vgprValuC+33] // *= alpha
v_mul_f32 v[vgprValuC+34], s[sgprAlpha], v[vgprValuC+34] // *= alpha
v_mul_f32 v[vgprValuC+35], s[sgprAlpha], v[vgprValuC+35] // *= alpha
v_mul_f32 v[vgprValuC+40], s[sgprAlpha], v[vgprValuC+40] // *= alpha
v_mul_f32 v[vgprValuC+41], s[sgprAlpha], v[vgprValuC+41] // *= alpha
v_mul_f32 v[vgprValuC+42], s[sgprAlpha], v[vgprValuC+42] // *= alpha
v_mul_f32 v[vgprValuC+43], s[sgprAlpha], v[vgprValuC+43] // *= alpha
v_mul_f32 v[vgprValuC+44], s[sgprAlpha], v[vgprValuC+44] // *= alpha
v_mul_f32 v[vgprValuC+45], s[sgprAlpha], v[vgprValuC+45] // *= alpha
v_mul_f32 v[vgprValuC+46], s[sgprAlpha], v[vgprValuC+46] // *= alpha
v_mul_f32 v[vgprValuC+47], s[sgprAlpha], v[vgprValuC+47] // *= alpha
v_mul_f32 v[vgprValuC+52], s[sgprAlpha], v[vgprValuC+52] // *= alpha
v_mul_f32 v[vgprValuC+53], s[sgprAlpha], v[vgprValuC+53] // *= alpha
v_mul_f32 v[vgprValuC+54], s[sgprAlpha], v[vgprValuC+54] // *= alpha
v_mul_f32 v[vgprValuC+55], s[sgprAlpha], v[vgprValuC+55] // *= alpha
v_mul_f32 v[vgprValuC+56], s[sgprAlpha], v[vgprValuC+56] // *= alpha
v_mul_f32 v[vgprValuC+57], s[sgprAlpha], v[vgprValuC+57] // *= alpha
v_mul_f32 v[vgprValuC+58], s[sgprAlpha], v[vgprValuC+58] // *= alpha
v_mul_f32 v[vgprValuC+59], s[sgprAlpha], v[vgprValuC+59] // *= alpha
v_mul_f32 v[vgprValuC+64], s[sgprAlpha], v[vgprValuC+64] // *= alpha
v_mul_f32 v[vgprValuC+65], s[sgprAlpha], v[vgprValuC+65] // *= alpha
v_mul_f32 v[vgprValuC+66], s[sgprAlpha], v[vgprValuC+66] // *= alpha
v_mul_f32 v[vgprValuC+67], s[sgprAlpha], v[vgprValuC+67] // *= alpha
v_mul_f32 v[vgprValuC+68], s[sgprAlpha], v[vgprValuC+68] // *= alpha
v_mul_f32 v[vgprValuC+69], s[sgprAlpha], v[vgprValuC+69] // *= alpha
v_mul_f32 v[vgprValuC+70], s[sgprAlpha], v[vgprValuC+70] // *= alpha
v_mul_f32 v[vgprValuC+71], s[sgprAlpha], v[vgprValuC+71] // *= alpha
v_mul_f32 v[vgprValuC+76], s[sgprAlpha], v[vgprValuC+76] // *= alpha
v_mul_f32 v[vgprValuC+77], s[sgprAlpha], v[vgprValuC+77] // *= alpha
v_mul_f32 v[vgprValuC+78], s[sgprAlpha], v[vgprValuC+78] // *= alpha
v_mul_f32 v[vgprValuC+79], s[sgprAlpha], v[vgprValuC+79] // *= alpha
v_mul_f32 v[vgprValuC+80], s[sgprAlpha], v[vgprValuC+80] // *= alpha
v_mul_f32 v[vgprValuC+81], s[sgprAlpha], v[vgprValuC+81] // *= alpha
v_mul_f32 v[vgprValuC+82], s[sgprAlpha], v[vgprValuC+82] // *= alpha
v_mul_f32 v[vgprValuC+83], s[sgprAlpha], v[vgprValuC+83] // *= alpha
v_mul_f32 v[vgprValuC+88], s[sgprAlpha], v[vgprValuC+88] // *= alpha
v_mul_f32 v[vgprValuC+89], s[sgprAlpha], v[vgprValuC+89] // *= alpha
v_mul_f32 v[vgprValuC+90], s[sgprAlpha], v[vgprValuC+90] // *= alpha
v_mul_f32 v[vgprValuC+91], s[sgprAlpha], v[vgprValuC+91] // *= alpha
v_mul_f32 v[vgprValuC+92], s[sgprAlpha], v[vgprValuC+92] // *= alpha
v_mul_f32 v[vgprValuC+93], s[sgprAlpha], v[vgprValuC+93] // *= alpha
v_mul_f32 v[vgprValuC+94], s[sgprAlpha], v[vgprValuC+94] // *= alpha
v_mul_f32 v[vgprValuC+95], s[sgprAlpha], v[vgprValuC+95] // *= alpha
v_mul_f32 v[vgprValuC+100], s[sgprAlpha], v[vgprValuC+100] // *= alpha
v_mul_f32 v[vgprValuC+101], s[sgprAlpha], v[vgprValuC+101] // *= alpha
v_mul_f32 v[vgprValuC+102], s[sgprAlpha], v[vgprValuC+102] // *= alpha
v_mul_f32 v[vgprValuC+103], s[sgprAlpha], v[vgprValuC+103] // *= alpha
v_mul_f32 v[vgprValuC+104], s[sgprAlpha], v[vgprValuC+104] // *= alpha
v_mul_f32 v[vgprValuC+105], s[sgprAlpha], v[vgprValuC+105] // *= alpha
v_mul_f32 v[vgprValuC+106], s[sgprAlpha], v[vgprValuC+106] // *= alpha
v_mul_f32 v[vgprValuC+107], s[sgprAlpha], v[vgprValuC+107] // *= alpha
v_mul_f32 v[vgprValuC+112], s[sgprAlpha], v[vgprValuC+112] // *= alpha
v_mul_f32 v[vgprValuC+113], s[sgprAlpha], v[vgprValuC+113] // *= alpha
v_mul_f32 v[vgprValuC+114], s[sgprAlpha], v[vgprValuC+114] // *= alpha
v_mul_f32 v[vgprValuC+115], s[sgprAlpha], v[vgprValuC+115] // *= alpha
v_mul_f32 v[vgprValuC+116], s[sgprAlpha], v[vgprValuC+116] // *= alpha
v_mul_f32 v[vgprValuC+117], s[sgprAlpha], v[vgprValuC+117] // *= alpha
v_mul_f32 v[vgprValuC+118], s[sgprAlpha], v[vgprValuC+118] // *= alpha
v_mul_f32 v[vgprValuC+119], s[sgprAlpha], v[vgprValuC+119] // *= alpha
v_mul_f32 v[vgprValuC+124], s[sgprAlpha], v[vgprValuC+124] // *= alpha
v_mul_f32 v[vgprValuC+125], s[sgprAlpha], v[vgprValuC+125] // *= alpha
v_mul_f32 v[vgprValuC+126], s[sgprAlpha], v[vgprValuC+126] // *= alpha
v_mul_f32 v[vgprValuC+127], s[sgprAlpha], v[vgprValuC+127] // *= alpha
v_mul_f32 v[vgprValuC+128], s[sgprAlpha], v[vgprValuC+128] // *= alpha
v_mul_f32 v[vgprValuC+129], s[sgprAlpha], v[vgprValuC+129] // *= alpha
v_mul_f32 v[vgprValuC+130], s[sgprAlpha], v[vgprValuC+130] // *= alpha
v_mul_f32 v[vgprValuC+131], s[sgprAlpha], v[vgprValuC+131] // *= alpha
v_mul_f32 v[vgprValuC+136], s[sgprAlpha], v[vgprValuC+136] // *= alpha
v_mul_f32 v[vgprValuC+137], s[sgprAlpha], v[vgprValuC+137] // *= alpha
v_mul_f32 v[vgprValuC+138], s[sgprAlpha], v[vgprValuC+138] // *= alpha
v_mul_f32 v[vgprValuC+139], s[sgprAlpha], v[vgprValuC+139] // *= alpha
v_mul_f32 v[vgprValuC+140], s[sgprAlpha], v[vgprValuC+140] // *= alpha
v_mul_f32 v[vgprValuC+141], s[sgprAlpha], v[vgprValuC+141] // *= alpha
v_mul_f32 v[vgprValuC+142], s[sgprAlpha], v[vgprValuC+142] // *= alpha
v_mul_f32 v[vgprValuC+143], s[sgprAlpha], v[vgprValuC+143] // *= alpha
v_mul_f32 v[vgprValuC+148], s[sgprAlpha], v[vgprValuC+148] // *= alpha
v_mul_f32 v[vgprValuC+149], s[sgprAlpha], v[vgprValuC+149] // *= alpha
v_mul_f32 v[vgprValuC+150], s[sgprAlpha], v[vgprValuC+150] // *= alpha
v_mul_f32 v[vgprValuC+151], s[sgprAlpha], v[vgprValuC+151] // *= alpha
v_mul_f32 v[vgprValuC+152], s[sgprAlpha], v[vgprValuC+152] // *= alpha
v_mul_f32 v[vgprValuC+153], s[sgprAlpha], v[vgprValuC+153] // *= alpha
v_mul_f32 v[vgprValuC+154], s[sgprAlpha], v[vgprValuC+154] // *= alpha
v_mul_f32 v[vgprValuC+155], s[sgprAlpha], v[vgprValuC+155] // *= alpha

/* apply mask, calc new C and issue writes */
v_mov_b32 v7, 0xffff0000                           // mask for pack two bfloat16 element to 32bit
v_mov_b32 v8, 0x7fff0000                           // fp32 Nan
v_mov_b32 v9, 0x7fff                               // rounding bias for bfloat16

s_waitcnt vmcnt(23)                                // wait C (interleaved) 23 = 24 - 0 + 0 - 1
v_lshlrev_b32 v4, 16, v12                          // convert bf16 to fp32
_v_mac_f32 v[vgprValuC+16], v4, s[sgprBeta]        // finalSum = sum*alpha + C*beta
v_and_b32 v4, v12, v7                              // convert bf16 to fp32
_v_mac_f32 v[vgprValuC+17], v4, s[sgprBeta]        // finalSum = sum*alpha + C*beta
v_lshlrev_b32 v4, 16, v13                          // convert bf16 to fp32
_v_mac_f32 v[vgprValuC+18], v4, s[sgprBeta]        // finalSum = sum*alpha + C*beta
v_and_b32 v4, v13, v7                              // convert bf16 to fp32
_v_mac_f32 v[vgprValuC+19], v4, s[sgprBeta]        // finalSum = sum*alpha + C*beta
v_cmp_u_f32 s[34:35], v[vgprValuC+16], v[vgprValuC+16] // check Nan
v_bfe_u32 v6, v[vgprValuC+16], 16, 1               // Non-Nan case: store lsb of bf16
v_add3_u32 v6, v[vgprValuC+16], v6, v9             // Non-Nan case: add lsb and the increment for rounding
v_cndmask_b32 v[vgprValuC+16], v6, v8, s[34:35]    // 
v_lshrrev_b32 v[vgprValuC+16], 16, v[vgprValuC+16] // convert C to bf16
v_cmp_u_f32 s[34:35], v[vgprValuC+17], v[vgprValuC+17] // check Nan
v_bfe_u32 v6, v[vgprValuC+17], 16, 1               // Non-Nan case: store lsb of bf16
v_add3_u32 v6, v[vgprValuC+17], v6, v9             // Non-Nan case: add lsb and the increment for rounding
v_cndmask_b32 v[vgprValuC+17], v6, v8, s[34:35]    // 
v_and_or_b32 v16, v[vgprValuC+17], v7, v[vgprValuC+16] // pack two bf16 to dword
v_cmp_u_f32 s[34:35], v[vgprValuC+18], v[vgprValuC+18] // check Nan
v_bfe_u32 v6, v[vgprValuC+18], 16, 1               // Non-Nan case: store lsb of bf16
v_add3_u32 v6, v[vgprValuC+18], v6, v9             // Non-Nan case: add lsb and the increment for rounding
v_cndmask_b32 v[vgprValuC+18], v6, v8, s[34:35]    // 
v_lshrrev_b32 v[vgprValuC+18], 16, v[vgprValuC+18] // convert C to bf16
v_cmp_u_f32 s[34:35], v[vgprValuC+19], v[vgprValuC+19] // check Nan
v_bfe_u32 v6, v[vgprValuC+19], 16, 1               // Non-Nan case: store lsb of bf16
v_add3_u32 v6, v[vgprValuC+19], v6, v9             // Non-Nan case: add lsb and the increment for rounding
v_cndmask_b32 v[vgprValuC+19], v6, v8, s[34:35]    // 
v_and_or_b32 v17, v[vgprValuC+19], v7, v[vgprValuC+18] // pack two bf16 to dword
s_mul_i32 s34, s[sgprStrideD1J], 50                // scale StrideD *= numRows(25) * bpe
s_add_u32  s[sgprSrdD+0], s[sgprSrdD+0], s34       // incToNextRow: gra SRD += inc(lower)
s_addc_u32  s[sgprSrdD+1], s[sgprSrdD+1], 0        // incToNextRow: gra SRD += inc(upper)
_buffer_store_b64 v[16:17], v10, s[sgprSrdD:sgprSrdD+3], 0, offen, offset:0,  sc0 sc1 // store D

s_waitcnt vmcnt(23)                                // wait C (interleaved) 23 = 24 - 1 + 1 - 1
v_lshlrev_b32 v4, 16, v14                          // convert bf16 to fp32
_v_mac_f32 v[vgprValuC+20], v4, s[sgprBeta]        // finalSum = sum*alpha + C*beta
v_and_b32 v4, v14, v7                              // convert bf16 to fp32
_v_mac_f32 v[vgprValuC+21], v4, s[sgprBeta]        // finalSum = sum*alpha + C*beta
v_lshlrev_b32 v4, 16, v15                          // convert bf16 to fp32
_v_mac_f32 v[vgprValuC+22], v4, s[sgprBeta]        // finalSum = sum*alpha + C*beta
v_and_b32 v4, v15, v7                              // convert bf16 to fp32
_v_mac_f32 v[vgprValuC+23], v4, s[sgprBeta]        // finalSum = sum*alpha + C*beta
v_cmp_u_f32 s[34:35], v[vgprValuC+20], v[vgprValuC+20] // check Nan
v_bfe_u32 v6, v[vgprValuC+20], 16, 1               // Non-Nan case: store lsb of bf16
v_add3_u32 v6, v[vgprValuC+20], v6, v9             // Non-Nan case: add lsb and the increment for rounding
v_cndmask_b32 v[vgprValuC+20], v6, v8, s[34:35]    // 
v_lshrrev_b32 v[vgprValuC+20], 16, v[vgprValuC+20] // convert C to bf16
v_cmp_u_f32 s[34:35], v[vgprValuC+21], v[vgprValuC+21] // check Nan
v_bfe_u32 v6, v[vgprValuC+21], 16, 1               // Non-Nan case: store lsb of bf16
v_add3_u32 v6, v[vgprValuC+21], v6, v9             // Non-Nan case: add lsb and the increment for rounding
v_cndmask_b32 v[vgprValuC+21], v6, v8, s[34:35]    // 
v_and_or_b32 v20, v[vgprValuC+21], v7, v[vgprValuC+20] // pack two bf16 to dword
v_cmp_u_f32 s[34:35], v[vgprValuC+22], v[vgprValuC+22] // check Nan
v_bfe_u32 v6, v[vgprValuC+22], 16, 1               // Non-Nan case: store lsb of bf16
v_add3_u32 v6, v[vgprValuC+22], v6, v9             // Non-Nan case: add lsb and the increment for rounding
v_cndmask_b32 v[vgprValuC+22], v6, v8, s[34:35]    // 
v_lshrrev_b32 v[vgprValuC+22], 16, v[vgprValuC+22] // convert C to bf16
v_cmp_u_f32 s[34:35], v[vgprValuC+23], v[vgprValuC+23] // check Nan
v_bfe_u32 v6, v[vgprValuC+23], 16, 1               // Non-Nan case: store lsb of bf16
v_add3_u32 v6, v[vgprValuC+23], v6, v9             // Non-Nan case: add lsb and the increment for rounding
v_cndmask_b32 v[vgprValuC+23], v6, v8, s[34:35]    // 
v_and_or_b32 v21, v[vgprValuC+23], v7, v[vgprValuC+22] // pack two bf16 to dword
s_lshl_b32  s34, s[sgprStrideD1J], 1               // incToNextRow: Scale by BPE
s_add_u32  s[sgprSrdD+0], s[sgprSrdD+0], s34       // incToNextRow: gra SRD += inc(lower)
s_addc_u32  s[sgprSrdD+1], s[sgprSrdD+1], 0        // incToNextRow: gra SRD += inc(upper)
_buffer_store_b64 v[20:21], v10, s[sgprSrdD:sgprSrdD+3], 0, offen, offset:0,  sc0 sc1 // store D

s_waitcnt vmcnt(23)                                // wait C (interleaved) 23 = 24 - 2 + 2 - 1
v_lshlrev_b32 v4, 16, v24                          // convert bf16 to fp32
_v_mac_f32 v[vgprValuC+28], v4, s[sgprBeta]        // finalSum = sum*alpha + C*beta
v_and_b32 v4, v24, v7                              // convert bf16 to fp32
_v_mac_f32 v[vgprValuC+29], v4, s[sgprBeta]        // finalSum = sum*alpha + C*beta
v_lshlrev_b32 v4, 16, v25                          // convert bf16 to fp32
_v_mac_f32 v[vgprValuC+30], v4, s[sgprBeta]        // finalSum = sum*alpha + C*beta
v_and_b32 v4, v25, v7                              // convert bf16 to fp32
_v_mac_f32 v[vgprValuC+31], v4, s[sgprBeta]        // finalSum = sum*alpha + C*beta
v_cmp_u_f32 s[34:35], v[vgprValuC+28], v[vgprValuC+28] // check Nan
v_bfe_u32 v6, v[vgprValuC+28], 16, 1               // Non-Nan case: store lsb of bf16
v_add3_u32 v6, v[vgprValuC+28], v6, v9             // Non-Nan case: add lsb and the increment for rounding
v_cndmask_b32 v[vgprValuC+28], v6, v8, s[34:35]    // 
v_lshrrev_b32 v[vgprValuC+28], 16, v[vgprValuC+28] // convert C to bf16
v_cmp_u_f32 s[34:35], v[vgprValuC+29], v[vgprValuC+29] // check Nan
v_bfe_u32 v6, v[vgprValuC+29], 16, 1               // Non-Nan case: store lsb of bf16
v_add3_u32 v6, v[vgprValuC+29], v6, v9             // Non-Nan case: add lsb and the increment for rounding
v_cndmask_b32 v[vgprValuC+29], v6, v8, s[34:35]    // 
v_and_or_b32 v28, v[vgprValuC+29], v7, v[vgprValuC+28] // pack two bf16 to dword
v_cmp_u_f32 s[34:35], v[vgprValuC+30], v[vgprValuC+30] // check Nan
v_bfe_u32 v6, v[vgprValuC+30], 16, 1               // Non-Nan case: store lsb of bf16
v_add3_u32 v6, v[vgprValuC+30], v6, v9             // Non-Nan case: add lsb and the increment for rounding
v_cndmask_b32 v[vgprValuC+30], v6, v8, s[34:35]    // 
v_lshrrev_b32 v[vgprValuC+30], 16, v[vgprValuC+30] // convert C to bf16
v_cmp_u_f32 s[34:35], v[vgprValuC+31], v[vgprValuC+31] // check Nan
v_bfe_u32 v6, v[vgprValuC+31], 16, 1               // Non-Nan case: store lsb of bf16
v_add3_u32 v6, v[vgprValuC+31], v6, v9             // Non-Nan case: add lsb and the increment for rounding
v_cndmask_b32 v[vgprValuC+31], v6, v8, s[34:35]    // 
v_and_or_b32 v29, v[vgprValuC+31], v7, v[vgprValuC+30] // pack two bf16 to dword
s_lshl_b32  s34, s[sgprStrideD1J], 1               // incToNextRow: Scale by BPE
	;; [unrolled: 34-line block ×7, first 2 shown]
s_add_u32  s[sgprSrdD+0], s[sgprSrdD+0], s34       // incToNextRow: gra SRD += inc(lower)
s_addc_u32  s[sgprSrdD+1], s[sgprSrdD+1], 0        // incToNextRow: gra SRD += inc(upper)
_buffer_store_b64 v[56:57], v10, s[sgprSrdD:sgprSrdD+3], 0, offen, offset:0,  sc0 sc1 // store D

s_waitcnt vmcnt(23)                                // wait C (interleaved) 23 = 24 - 8 + 8 - 1
v_lshlrev_b32 v4, 16, v60                          // convert bf16 to fp32
_v_mac_f32 v[vgprValuC+64], v4, s[sgprBeta]        // finalSum = sum*alpha + C*beta
v_and_b32 v4, v60, v7                              // convert bf16 to fp32
_v_mac_f32 v[vgprValuC+65], v4, s[sgprBeta]        // finalSum = sum*alpha + C*beta
v_lshlrev_b32 v4, 16, v61                          // convert bf16 to fp32
_v_mac_f32 v[vgprValuC+66], v4, s[sgprBeta]        // finalSum = sum*alpha + C*beta
v_and_b32 v4, v61, v7                              // convert bf16 to fp32
_v_mac_f32 v[vgprValuC+67], v4, s[sgprBeta]        // finalSum = sum*alpha + C*beta
v_cmp_u_f32 s[34:35], v[vgprValuC+64], v[vgprValuC+64] // check Nan
v_bfe_u32 v6, v[vgprValuC+64], 16, 1               // Non-Nan case: store lsb of bf16
v_add3_u32 v6, v[vgprValuC+64], v6, v9             // Non-Nan case: add lsb and the increment for rounding
v_cndmask_b32 v[vgprValuC+64], v6, v8, s[34:35]    // 
v_lshrrev_b32 v[vgprValuC+64], 16, v[vgprValuC+64] // convert C to bf16
v_cmp_u_f32 s[34:35], v[vgprValuC+65], v[vgprValuC+65] // check Nan
v_bfe_u32 v6, v[vgprValuC+65], 16, 1               // Non-Nan case: store lsb of bf16
v_add3_u32 v6, v[vgprValuC+65], v6, v9             // Non-Nan case: add lsb and the increment for rounding
v_cndmask_b32 v[vgprValuC+65], v6, v8, s[34:35]    // 
v_and_or_b32 v64, v[vgprValuC+65], v7, v[vgprValuC+64] // pack two bf16 to dword
v_cmp_u_f32 s[34:35], v[vgprValuC+66], v[vgprValuC+66] // check Nan
v_bfe_u32 v6, v[vgprValuC+66], 16, 1               // Non-Nan case: store lsb of bf16
v_add3_u32 v6, v[vgprValuC+66], v6, v9             // Non-Nan case: add lsb and the increment for rounding
v_cndmask_b32 v[vgprValuC+66], v6, v8, s[34:35]    // 
v_lshrrev_b32 v[vgprValuC+66], 16, v[vgprValuC+66] // convert C to bf16
v_cmp_u_f32 s[34:35], v[vgprValuC+67], v[vgprValuC+67] // check Nan
v_bfe_u32 v6, v[vgprValuC+67], 16, 1               // Non-Nan case: store lsb of bf16
v_add3_u32 v6, v[vgprValuC+67], v6, v9             // Non-Nan case: add lsb and the increment for rounding
v_cndmask_b32 v[vgprValuC+67], v6, v8, s[34:35]    // 
v_and_or_b32 v65, v[vgprValuC+67], v7, v[vgprValuC+66] // pack two bf16 to dword
s_mul_i32 s34, s[sgprStrideD1J], 50                // scale StrideD *= numRows(25) * bpe
s_add_u32  s[sgprSrdD+0], s[sgprSrdD+0], s34       // incToNextRow: gra SRD += inc(lower)
s_addc_u32  s[sgprSrdD+1], s[sgprSrdD+1], 0        // incToNextRow: gra SRD += inc(upper)
_buffer_store_b64 v[64:65], v10, s[sgprSrdD:sgprSrdD+3], 0, offen, offset:0,  sc0 sc1 // store D

s_waitcnt vmcnt(23)                                // wait C (interleaved) 23 = 24 - 9 + 9 - 1
v_lshlrev_b32 v4, 16, v62                          // convert bf16 to fp32
_v_mac_f32 v[vgprValuC+68], v4, s[sgprBeta]        // finalSum = sum*alpha + C*beta
v_and_b32 v4, v62, v7                              // convert bf16 to fp32
_v_mac_f32 v[vgprValuC+69], v4, s[sgprBeta]        // finalSum = sum*alpha + C*beta
v_lshlrev_b32 v4, 16, v63                          // convert bf16 to fp32
_v_mac_f32 v[vgprValuC+70], v4, s[sgprBeta]        // finalSum = sum*alpha + C*beta
v_and_b32 v4, v63, v7                              // convert bf16 to fp32
_v_mac_f32 v[vgprValuC+71], v4, s[sgprBeta]        // finalSum = sum*alpha + C*beta
v_cmp_u_f32 s[34:35], v[vgprValuC+68], v[vgprValuC+68] // check Nan
v_bfe_u32 v6, v[vgprValuC+68], 16, 1               // Non-Nan case: store lsb of bf16
v_add3_u32 v6, v[vgprValuC+68], v6, v9             // Non-Nan case: add lsb and the increment for rounding
v_cndmask_b32 v[vgprValuC+68], v6, v8, s[34:35]    // 
v_lshrrev_b32 v[vgprValuC+68], 16, v[vgprValuC+68] // convert C to bf16
v_cmp_u_f32 s[34:35], v[vgprValuC+69], v[vgprValuC+69] // check Nan
v_bfe_u32 v6, v[vgprValuC+69], 16, 1               // Non-Nan case: store lsb of bf16
v_add3_u32 v6, v[vgprValuC+69], v6, v9             // Non-Nan case: add lsb and the increment for rounding
v_cndmask_b32 v[vgprValuC+69], v6, v8, s[34:35]    // 
v_and_or_b32 v68, v[vgprValuC+69], v7, v[vgprValuC+68] // pack two bf16 to dword
v_cmp_u_f32 s[34:35], v[vgprValuC+70], v[vgprValuC+70] // check Nan
v_bfe_u32 v6, v[vgprValuC+70], 16, 1               // Non-Nan case: store lsb of bf16
v_add3_u32 v6, v[vgprValuC+70], v6, v9             // Non-Nan case: add lsb and the increment for rounding
v_cndmask_b32 v[vgprValuC+70], v6, v8, s[34:35]    // 
v_lshrrev_b32 v[vgprValuC+70], 16, v[vgprValuC+70] // convert C to bf16
v_cmp_u_f32 s[34:35], v[vgprValuC+71], v[vgprValuC+71] // check Nan
v_bfe_u32 v6, v[vgprValuC+71], 16, 1               // Non-Nan case: store lsb of bf16
v_add3_u32 v6, v[vgprValuC+71], v6, v9             // Non-Nan case: add lsb and the increment for rounding
v_cndmask_b32 v[vgprValuC+71], v6, v8, s[34:35]    // 
v_and_or_b32 v69, v[vgprValuC+71], v7, v[vgprValuC+70] // pack two bf16 to dword
s_lshl_b32  s34, s[sgprStrideD1J], 1               // incToNextRow: Scale by BPE
s_add_u32  s[sgprSrdD+0], s[sgprSrdD+0], s34       // incToNextRow: gra SRD += inc(lower)
s_addc_u32  s[sgprSrdD+1], s[sgprSrdD+1], 0        // incToNextRow: gra SRD += inc(upper)
_buffer_store_b64 v[68:69], v10, s[sgprSrdD:sgprSrdD+3], 0, offen, offset:0,  sc0 sc1 // store D

s_waitcnt vmcnt(23)                                // wait C (interleaved) 23 = 24 - 10 + 10 - 1
v_lshlrev_b32 v4, 16, v72                          // convert bf16 to fp32
_v_mac_f32 v[vgprValuC+76], v4, s[sgprBeta]        // finalSum = sum*alpha + C*beta
v_and_b32 v4, v72, v7                              // convert bf16 to fp32
_v_mac_f32 v[vgprValuC+77], v4, s[sgprBeta]        // finalSum = sum*alpha + C*beta
v_lshlrev_b32 v4, 16, v73                          // convert bf16 to fp32
_v_mac_f32 v[vgprValuC+78], v4, s[sgprBeta]        // finalSum = sum*alpha + C*beta
v_and_b32 v4, v73, v7                              // convert bf16 to fp32
_v_mac_f32 v[vgprValuC+79], v4, s[sgprBeta]        // finalSum = sum*alpha + C*beta
v_cmp_u_f32 s[34:35], v[vgprValuC+76], v[vgprValuC+76] // check Nan
v_bfe_u32 v6, v[vgprValuC+76], 16, 1               // Non-Nan case: store lsb of bf16
v_add3_u32 v6, v[vgprValuC+76], v6, v9             // Non-Nan case: add lsb and the increment for rounding
v_cndmask_b32 v[vgprValuC+76], v6, v8, s[34:35]    // 
v_lshrrev_b32 v[vgprValuC+76], 16, v[vgprValuC+76] // convert C to bf16
v_cmp_u_f32 s[34:35], v[vgprValuC+77], v[vgprValuC+77] // check Nan
v_bfe_u32 v6, v[vgprValuC+77], 16, 1               // Non-Nan case: store lsb of bf16
v_add3_u32 v6, v[vgprValuC+77], v6, v9             // Non-Nan case: add lsb and the increment for rounding
v_cndmask_b32 v[vgprValuC+77], v6, v8, s[34:35]    // 
v_and_or_b32 v76, v[vgprValuC+77], v7, v[vgprValuC+76] // pack two bf16 to dword
v_cmp_u_f32 s[34:35], v[vgprValuC+78], v[vgprValuC+78] // check Nan
v_bfe_u32 v6, v[vgprValuC+78], 16, 1               // Non-Nan case: store lsb of bf16
v_add3_u32 v6, v[vgprValuC+78], v6, v9             // Non-Nan case: add lsb and the increment for rounding
v_cndmask_b32 v[vgprValuC+78], v6, v8, s[34:35]    // 
v_lshrrev_b32 v[vgprValuC+78], 16, v[vgprValuC+78] // convert C to bf16
v_cmp_u_f32 s[34:35], v[vgprValuC+79], v[vgprValuC+79] // check Nan
v_bfe_u32 v6, v[vgprValuC+79], 16, 1               // Non-Nan case: store lsb of bf16
v_add3_u32 v6, v[vgprValuC+79], v6, v9             // Non-Nan case: add lsb and the increment for rounding
v_cndmask_b32 v[vgprValuC+79], v6, v8, s[34:35]    // 
v_and_or_b32 v77, v[vgprValuC+79], v7, v[vgprValuC+78] // pack two bf16 to dword
s_lshl_b32  s34, s[sgprStrideD1J], 1               // incToNextRow: Scale by BPE
	;; [unrolled: 34-line block ×5, first 2 shown]
s_add_u32  s[sgprSrdD+0], s[sgprSrdD+0], s34       // incToNextRow: gra SRD += inc(lower)
s_addc_u32  s[sgprSrdD+1], s[sgprSrdD+1], 0        // incToNextRow: gra SRD += inc(upper)
_buffer_store_b64 v[92:93], v10, s[sgprSrdD:sgprSrdD+3], 0, offen, offset:0,  sc0 sc1 // store D

s_waitcnt vmcnt(23)                                // wait C (interleaved) 23 = 24 - 14 + 14 - 1
v_lshlrev_b32 v4, 16, v96                          // convert bf16 to fp32
_v_mac_f32 v[vgprValuC+100], v4, s[sgprBeta]       // finalSum = sum*alpha + C*beta
v_and_b32 v4, v96, v7                              // convert bf16 to fp32
_v_mac_f32 v[vgprValuC+101], v4, s[sgprBeta]       // finalSum = sum*alpha + C*beta
v_lshlrev_b32 v4, 16, v97                          // convert bf16 to fp32
_v_mac_f32 v[vgprValuC+102], v4, s[sgprBeta]       // finalSum = sum*alpha + C*beta
v_and_b32 v4, v97, v7                              // convert bf16 to fp32
_v_mac_f32 v[vgprValuC+103], v4, s[sgprBeta]       // finalSum = sum*alpha + C*beta
v_cmp_u_f32 s[34:35], v[vgprValuC+100], v[vgprValuC+100] // check Nan
v_bfe_u32 v6, v[vgprValuC+100], 16, 1              // Non-Nan case: store lsb of bf16
v_add3_u32 v6, v[vgprValuC+100], v6, v9            // Non-Nan case: add lsb and the increment for rounding
v_cndmask_b32 v[vgprValuC+100], v6, v8, s[34:35]   // 
v_lshrrev_b32 v[vgprValuC+100], 16, v[vgprValuC+100] // convert C to bf16
v_cmp_u_f32 s[34:35], v[vgprValuC+101], v[vgprValuC+101] // check Nan
v_bfe_u32 v6, v[vgprValuC+101], 16, 1              // Non-Nan case: store lsb of bf16
v_add3_u32 v6, v[vgprValuC+101], v6, v9            // Non-Nan case: add lsb and the increment for rounding
v_cndmask_b32 v[vgprValuC+101], v6, v8, s[34:35]   // 
v_and_or_b32 v100, v[vgprValuC+101], v7, v[vgprValuC+100] // pack two bf16 to dword
v_cmp_u_f32 s[34:35], v[vgprValuC+102], v[vgprValuC+102] // check Nan
v_bfe_u32 v6, v[vgprValuC+102], 16, 1              // Non-Nan case: store lsb of bf16
v_add3_u32 v6, v[vgprValuC+102], v6, v9            // Non-Nan case: add lsb and the increment for rounding
v_cndmask_b32 v[vgprValuC+102], v6, v8, s[34:35]   // 
v_lshrrev_b32 v[vgprValuC+102], 16, v[vgprValuC+102] // convert C to bf16
v_cmp_u_f32 s[34:35], v[vgprValuC+103], v[vgprValuC+103] // check Nan
v_bfe_u32 v6, v[vgprValuC+103], 16, 1              // Non-Nan case: store lsb of bf16
v_add3_u32 v6, v[vgprValuC+103], v6, v9            // Non-Nan case: add lsb and the increment for rounding
v_cndmask_b32 v[vgprValuC+103], v6, v8, s[34:35]   // 
v_and_or_b32 v101, v[vgprValuC+103], v7, v[vgprValuC+102] // pack two bf16 to dword
s_lshl_b32  s34, s[sgprStrideD1J], 1               // incToNextRow: Scale by BPE
s_add_u32  s[sgprSrdD+0], s[sgprSrdD+0], s34       // incToNextRow: gra SRD += inc(lower)
s_addc_u32  s[sgprSrdD+1], s[sgprSrdD+1], 0        // incToNextRow: gra SRD += inc(upper)
_buffer_store_b64 v[100:101], v10, s[sgprSrdD:sgprSrdD+3], 0, offen, offset:0,  sc0 sc1 // store D

s_waitcnt vmcnt(23)                                // wait C (interleaved) 23 = 24 - 15 + 15 - 1
v_lshlrev_b32 v4, 16, v98                          // convert bf16 to fp32
_v_mac_f32 v[vgprValuC+104], v4, s[sgprBeta]       // finalSum = sum*alpha + C*beta
v_and_b32 v4, v98, v7                              // convert bf16 to fp32
_v_mac_f32 v[vgprValuC+105], v4, s[sgprBeta]       // finalSum = sum*alpha + C*beta
v_lshlrev_b32 v4, 16, v99                          // convert bf16 to fp32
_v_mac_f32 v[vgprValuC+106], v4, s[sgprBeta]       // finalSum = sum*alpha + C*beta
v_and_b32 v4, v99, v7                              // convert bf16 to fp32
_v_mac_f32 v[vgprValuC+107], v4, s[sgprBeta]       // finalSum = sum*alpha + C*beta
v_cmp_u_f32 s[34:35], v[vgprValuC+104], v[vgprValuC+104] // check Nan
v_bfe_u32 v6, v[vgprValuC+104], 16, 1              // Non-Nan case: store lsb of bf16
v_add3_u32 v6, v[vgprValuC+104], v6, v9            // Non-Nan case: add lsb and the increment for rounding
v_cndmask_b32 v[vgprValuC+104], v6, v8, s[34:35]   // 
v_lshrrev_b32 v[vgprValuC+104], 16, v[vgprValuC+104] // convert C to bf16
v_cmp_u_f32 s[34:35], v[vgprValuC+105], v[vgprValuC+105] // check Nan
v_bfe_u32 v6, v[vgprValuC+105], 16, 1              // Non-Nan case: store lsb of bf16
v_add3_u32 v6, v[vgprValuC+105], v6, v9            // Non-Nan case: add lsb and the increment for rounding
v_cndmask_b32 v[vgprValuC+105], v6, v8, s[34:35]   // 
v_and_or_b32 v104, v[vgprValuC+105], v7, v[vgprValuC+104] // pack two bf16 to dword
v_cmp_u_f32 s[34:35], v[vgprValuC+106], v[vgprValuC+106] // check Nan
v_bfe_u32 v6, v[vgprValuC+106], 16, 1              // Non-Nan case: store lsb of bf16
v_add3_u32 v6, v[vgprValuC+106], v6, v9            // Non-Nan case: add lsb and the increment for rounding
v_cndmask_b32 v[vgprValuC+106], v6, v8, s[34:35]   // 
v_lshrrev_b32 v[vgprValuC+106], 16, v[vgprValuC+106] // convert C to bf16
v_cmp_u_f32 s[34:35], v[vgprValuC+107], v[vgprValuC+107] // check Nan
v_bfe_u32 v6, v[vgprValuC+107], 16, 1              // Non-Nan case: store lsb of bf16
v_add3_u32 v6, v[vgprValuC+107], v6, v9            // Non-Nan case: add lsb and the increment for rounding
v_cndmask_b32 v[vgprValuC+107], v6, v8, s[34:35]   // 
v_and_or_b32 v105, v[vgprValuC+107], v7, v[vgprValuC+106] // pack two bf16 to dword
s_lshl_b32  s34, s[sgprStrideD1J], 1               // incToNextRow: Scale by BPE
s_add_u32  s[sgprSrdD+0], s[sgprSrdD+0], s34       // incToNextRow: gra SRD += inc(lower)
s_addc_u32  s[sgprSrdD+1], s[sgprSrdD+1], 0        // incToNextRow: gra SRD += inc(upper)
_buffer_store_b64 v[104:105], v10, s[sgprSrdD:sgprSrdD+3], 0, offen, offset:0,  sc0 sc1 // store D

s_waitcnt vmcnt(23)                                // wait C (interleaved) 23 = 24 - 16 + 16 - 1
v_lshlrev_b32 v4, 16, v108                         // convert bf16 to fp32
_v_mac_f32 v[vgprValuC+112], v4, s[sgprBeta]       // finalSum = sum*alpha + C*beta
v_and_b32 v4, v108, v7                             // convert bf16 to fp32
_v_mac_f32 v[vgprValuC+113], v4, s[sgprBeta]       // finalSum = sum*alpha + C*beta
v_lshlrev_b32 v4, 16, v109                         // convert bf16 to fp32
_v_mac_f32 v[vgprValuC+114], v4, s[sgprBeta]       // finalSum = sum*alpha + C*beta
v_and_b32 v4, v109, v7                             // convert bf16 to fp32
_v_mac_f32 v[vgprValuC+115], v4, s[sgprBeta]       // finalSum = sum*alpha + C*beta
v_cmp_u_f32 s[34:35], v[vgprValuC+112], v[vgprValuC+112] // check Nan
v_bfe_u32 v6, v[vgprValuC+112], 16, 1              // Non-Nan case: store lsb of bf16
v_add3_u32 v6, v[vgprValuC+112], v6, v9            // Non-Nan case: add lsb and the increment for rounding
v_cndmask_b32 v[vgprValuC+112], v6, v8, s[34:35]   // 
v_lshrrev_b32 v[vgprValuC+112], 16, v[vgprValuC+112] // convert C to bf16
v_cmp_u_f32 s[34:35], v[vgprValuC+113], v[vgprValuC+113] // check Nan
v_bfe_u32 v6, v[vgprValuC+113], 16, 1              // Non-Nan case: store lsb of bf16
v_add3_u32 v6, v[vgprValuC+113], v6, v9            // Non-Nan case: add lsb and the increment for rounding
v_cndmask_b32 v[vgprValuC+113], v6, v8, s[34:35]   // 
v_and_or_b32 v112, v[vgprValuC+113], v7, v[vgprValuC+112] // pack two bf16 to dword
v_cmp_u_f32 s[34:35], v[vgprValuC+114], v[vgprValuC+114] // check Nan
v_bfe_u32 v6, v[vgprValuC+114], 16, 1              // Non-Nan case: store lsb of bf16
v_add3_u32 v6, v[vgprValuC+114], v6, v9            // Non-Nan case: add lsb and the increment for rounding
v_cndmask_b32 v[vgprValuC+114], v6, v8, s[34:35]   // 
v_lshrrev_b32 v[vgprValuC+114], 16, v[vgprValuC+114] // convert C to bf16
v_cmp_u_f32 s[34:35], v[vgprValuC+115], v[vgprValuC+115] // check Nan
v_bfe_u32 v6, v[vgprValuC+115], 16, 1              // Non-Nan case: store lsb of bf16
v_add3_u32 v6, v[vgprValuC+115], v6, v9            // Non-Nan case: add lsb and the increment for rounding
v_cndmask_b32 v[vgprValuC+115], v6, v8, s[34:35]   // 
v_and_or_b32 v113, v[vgprValuC+115], v7, v[vgprValuC+114] // pack two bf16 to dword
s_mul_i32 s34, s[sgprStrideD1J], 50                // scale StrideD *= numRows(25) * bpe
s_add_u32  s[sgprSrdD+0], s[sgprSrdD+0], s34       // incToNextRow: gra SRD += inc(lower)
s_addc_u32  s[sgprSrdD+1], s[sgprSrdD+1], 0        // incToNextRow: gra SRD += inc(upper)
_buffer_store_b64 v[112:113], v10, s[sgprSrdD:sgprSrdD+3], 0, offen, offset:0,  sc0 sc1 // store D

s_waitcnt vmcnt(23)                                // wait C (interleaved) 23 = 24 - 17 + 17 - 1
v_lshlrev_b32 v4, 16, v110                         // convert bf16 to fp32
_v_mac_f32 v[vgprValuC+116], v4, s[sgprBeta]       // finalSum = sum*alpha + C*beta
v_and_b32 v4, v110, v7                             // convert bf16 to fp32
_v_mac_f32 v[vgprValuC+117], v4, s[sgprBeta]       // finalSum = sum*alpha + C*beta
v_lshlrev_b32 v4, 16, v111                         // convert bf16 to fp32
_v_mac_f32 v[vgprValuC+118], v4, s[sgprBeta]       // finalSum = sum*alpha + C*beta
v_and_b32 v4, v111, v7                             // convert bf16 to fp32
_v_mac_f32 v[vgprValuC+119], v4, s[sgprBeta]       // finalSum = sum*alpha + C*beta
v_cmp_u_f32 s[34:35], v[vgprValuC+116], v[vgprValuC+116] // check Nan
v_bfe_u32 v6, v[vgprValuC+116], 16, 1              // Non-Nan case: store lsb of bf16
v_add3_u32 v6, v[vgprValuC+116], v6, v9            // Non-Nan case: add lsb and the increment for rounding
v_cndmask_b32 v[vgprValuC+116], v6, v8, s[34:35]   // 
v_lshrrev_b32 v[vgprValuC+116], 16, v[vgprValuC+116] // convert C to bf16
v_cmp_u_f32 s[34:35], v[vgprValuC+117], v[vgprValuC+117] // check Nan
v_bfe_u32 v6, v[vgprValuC+117], 16, 1              // Non-Nan case: store lsb of bf16
v_add3_u32 v6, v[vgprValuC+117], v6, v9            // Non-Nan case: add lsb and the increment for rounding
v_cndmask_b32 v[vgprValuC+117], v6, v8, s[34:35]   // 
v_and_or_b32 v116, v[vgprValuC+117], v7, v[vgprValuC+116] // pack two bf16 to dword
v_cmp_u_f32 s[34:35], v[vgprValuC+118], v[vgprValuC+118] // check Nan
v_bfe_u32 v6, v[vgprValuC+118], 16, 1              // Non-Nan case: store lsb of bf16
v_add3_u32 v6, v[vgprValuC+118], v6, v9            // Non-Nan case: add lsb and the increment for rounding
v_cndmask_b32 v[vgprValuC+118], v6, v8, s[34:35]   // 
v_lshrrev_b32 v[vgprValuC+118], 16, v[vgprValuC+118] // convert C to bf16
v_cmp_u_f32 s[34:35], v[vgprValuC+119], v[vgprValuC+119] // check Nan
v_bfe_u32 v6, v[vgprValuC+119], 16, 1              // Non-Nan case: store lsb of bf16
v_add3_u32 v6, v[vgprValuC+119], v6, v9            // Non-Nan case: add lsb and the increment for rounding
v_cndmask_b32 v[vgprValuC+119], v6, v8, s[34:35]   // 
v_and_or_b32 v117, v[vgprValuC+119], v7, v[vgprValuC+118] // pack two bf16 to dword
s_lshl_b32  s34, s[sgprStrideD1J], 1               // incToNextRow: Scale by BPE
s_add_u32  s[sgprSrdD+0], s[sgprSrdD+0], s34       // incToNextRow: gra SRD += inc(lower)
s_addc_u32  s[sgprSrdD+1], s[sgprSrdD+1], 0        // incToNextRow: gra SRD += inc(upper)
_buffer_store_b64 v[116:117], v10, s[sgprSrdD:sgprSrdD+3], 0, offen, offset:0,  sc0 sc1 // store D

s_waitcnt vmcnt(23)                                // wait C (interleaved) 23 = 24 - 18 + 18 - 1
v_lshlrev_b32 v4, 16, v120                         // convert bf16 to fp32
_v_mac_f32 v[vgprValuC+124], v4, s[sgprBeta]       // finalSum = sum*alpha + C*beta
v_and_b32 v4, v120, v7                             // convert bf16 to fp32
_v_mac_f32 v[vgprValuC+125], v4, s[sgprBeta]       // finalSum = sum*alpha + C*beta
v_lshlrev_b32 v4, 16, v121                         // convert bf16 to fp32
_v_mac_f32 v[vgprValuC+126], v4, s[sgprBeta]       // finalSum = sum*alpha + C*beta
v_and_b32 v4, v121, v7                             // convert bf16 to fp32
_v_mac_f32 v[vgprValuC+127], v4, s[sgprBeta]       // finalSum = sum*alpha + C*beta
v_cmp_u_f32 s[34:35], v[vgprValuC+124], v[vgprValuC+124] // check Nan
v_bfe_u32 v6, v[vgprValuC+124], 16, 1              // Non-Nan case: store lsb of bf16
v_add3_u32 v6, v[vgprValuC+124], v6, v9            // Non-Nan case: add lsb and the increment for rounding
v_cndmask_b32 v[vgprValuC+124], v6, v8, s[34:35]   // 
v_lshrrev_b32 v[vgprValuC+124], 16, v[vgprValuC+124] // convert C to bf16
v_cmp_u_f32 s[34:35], v[vgprValuC+125], v[vgprValuC+125] // check Nan
v_bfe_u32 v6, v[vgprValuC+125], 16, 1              // Non-Nan case: store lsb of bf16
v_add3_u32 v6, v[vgprValuC+125], v6, v9            // Non-Nan case: add lsb and the increment for rounding
v_cndmask_b32 v[vgprValuC+125], v6, v8, s[34:35]   // 
v_and_or_b32 v124, v[vgprValuC+125], v7, v[vgprValuC+124] // pack two bf16 to dword
v_cmp_u_f32 s[34:35], v[vgprValuC+126], v[vgprValuC+126] // check Nan
v_bfe_u32 v6, v[vgprValuC+126], 16, 1              // Non-Nan case: store lsb of bf16
v_add3_u32 v6, v[vgprValuC+126], v6, v9            // Non-Nan case: add lsb and the increment for rounding
v_cndmask_b32 v[vgprValuC+126], v6, v8, s[34:35]   // 
v_lshrrev_b32 v[vgprValuC+126], 16, v[vgprValuC+126] // convert C to bf16
v_cmp_u_f32 s[34:35], v[vgprValuC+127], v[vgprValuC+127] // check Nan
v_bfe_u32 v6, v[vgprValuC+127], 16, 1              // Non-Nan case: store lsb of bf16
v_add3_u32 v6, v[vgprValuC+127], v6, v9            // Non-Nan case: add lsb and the increment for rounding
v_cndmask_b32 v[vgprValuC+127], v6, v8, s[34:35]   // 
v_and_or_b32 v125, v[vgprValuC+127], v7, v[vgprValuC+126] // pack two bf16 to dword
s_lshl_b32  s34, s[sgprStrideD1J], 1               // incToNextRow: Scale by BPE
	;; [unrolled: 34-line block ×7, first 2 shown]
s_add_u32  s[sgprSrdD+0], s[sgprSrdD+0], s34       // incToNextRow: gra SRD += inc(lower)
s_addc_u32  s[sgprSrdD+1], s[sgprSrdD+1], 0        // incToNextRow: gra SRD += inc(upper)
_buffer_store_b64 v[152:153], v10, s[sgprSrdD:sgprSrdD+3], 0, offen, offset:0,  sc0 sc1 // store D
s_nop 0                                            // 1 wait state required when next inst writes vgprs held by previous dwordx4 store inst
s_branch label_GW_End_58                           // jump to end
GW_B1_E1_57:

/* edge=1, allocate 6 sgpr. perBatchTmpS=4 perBatchMaskS=2 perElementMaskS=0 elementsPerBatch=80 */
/* optSingleColVgpr=0 optSharedColVgpr=0 optSGPRUsage=BufferLoad_Edge_Mask optSrdIncForRow=0 */

/******************************************/
/* Global Write Alpha Beta Edge Batch #0 (d1,d0,vc1,vc0) = */
/*    (0,0,0,0:vw1); (0,0,0,1:vw1); (0,0,0,2:vw1); (0,0,0,3:vw1); (0,0,1,0:vw1); (0,0,1,1:vw1); (0,0,1,2:vw1); (0,0,1,3:vw1); (0,0,2,0:vw1); (0,0,2,1:vw1); (0,0,2,2:vw1); (0,0,2,3:vw1); (0,0,3,0:vw1); (0,0,3,1:vw1); (0,0,3,2:vw1); (0,0,3,3:vw1); (0,0,4,0:vw1); (0,0,4,1:vw1); (0,0,4,2:vw1); (0,0,4,3:vw1); (0,0,5,0:vw1); (0,0,5,1:vw1); (0,0,5,2:vw1); (0,0,5,3:vw1); (0,0,6,0:vw1); (0,0,6,1:vw1); (0,0,6,2:vw1); (0,0,6,3:vw1); (0,0,7,0:vw1); (0,0,7,1:vw1); (0,0,7,2:vw1); (0,0,7,3:vw1); (1,0,0,0:vw1); (1,0,0,1:vw1); (1,0,0,2:vw1); (1,0,0,3:vw1); (1,0,1,0:vw1); (1,0,1,1:vw1); (1,0,1,2:vw1); (1,0,1,3:vw1); (1,0,2,0:vw1); (1,0,2,1:vw1); (1,0,2,2:vw1); (1,0,2,3:vw1); (1,0,3,0:vw1); (1,0,3,1:vw1); (1,0,3,2:vw1); (1,0,3,3:vw1); (1,0,4,0:vw1); (1,0,4,1:vw1); (1,0,4,2:vw1); (1,0,4,3:vw1); (1,0,5,0:vw1); (1,0,5,1:vw1); (1,0,5,2:vw1); (1,0,5,3:vw1); (1,0,6,0:vw1); (1,0,6,1:vw1); (1,0,6,2:vw1); (1,0,6,3:vw1); (1,0,7,0:vw1); (1,0,7,1:vw1); (1,0,7,2:vw1); (1,0,7,3:vw1); (2,0,0,0:vw1); (2,0,0,1:vw1); (2,0,0,2:vw1); (2,0,0,3:vw1); (2,0,1,0:vw1); (2,0,1,1:vw1); (2,0,1,2:vw1); (2,0,1,3:vw1); (2,0,2,0:vw1); (2,0,2,1:vw1); (2,0,2,2:vw1); (2,0,2,3:vw1); (2,0,3,0:vw1); (2,0,3,1:vw1); (2,0,3,2:vw1); (2,0,3,3:vw1) */
/******************************************/

/* calc coords, apply mask, and issue loads (if necessary) */
/* (d1,vc1,d0,vc0)=(0,0,0,0) */
v_cmp_lt_u32 s[52:53], v0, s[sgprSizeI]            // coord0 < size0
v_cmp_lt_u32 s[56:57], v1, s[sgprSizeJ]            // coord1 < size1
s_and_b64 s[56:57], s[52:53], s[56:57]             // in0 && in1
_v_add_lshl_u32 v10, v2, v0, 0x1                   // scaleToBpe: accumulate d0 lower and *= bpe into Cin addr
v_cndmask_b32 v10, -1, v10, s[56:57]               // LDC clip if OOB. offset
_buffer_load_d16_b16 v11, v10, s[sgprSrdC:sgprSrdC+3], 0, offen offset:0,  sc0 sc1 // load C for beta calc
_v_add_lshl_u32 v10, v3, v0, 0x1                   // scaleToBpe: accumulate d0 lower and *= bpe into Cin addr
v_cndmask_b32 v10, -1, v10, s[56:57]               // LDD clip if OOB. offset
/* (d1,vc1,d0,vc0)=(0,0,0,1) */
_v_add_co_u32 v4, vcc, v0, 1                       // coord0.1: coord0 += d0*sg0*VW + vc0
v_cmp_lt_u32 s[52:53], v4, s[sgprSizeI]            // coord0 < size0
v_cmp_lt_u32 s[56:57], v1, s[sgprSizeJ]            // coord1 < size1
s_and_b64 s[56:57], s[52:53], s[56:57]             // in0 && in1
_v_add_lshl_u32 v13, v2, v4, 0x1                   // scaleToBpe: accumulate d0 lower and *= bpe into Cin addr
v_cndmask_b32 v13, -1, v13, s[56:57]               // LDC clip if OOB. offset
_buffer_load_d16_b16 v14, v13, s[sgprSrdC:sgprSrdC+3], 0, offen offset:0,  sc0 sc1 // load C for beta calc
_v_add_lshl_u32 v13, v3, v4, 0x1                   // scaleToBpe: accumulate d0 lower and *= bpe into Cin addr
v_cndmask_b32 v13, -1, v13, s[56:57]               // LDD clip if OOB. offset
/* (d1,vc1,d0,vc0)=(0,0,0,2) */
_v_add_co_u32 v4, vcc, v0, 2                       // coord0.1: coord0 += d0*sg0*VW + vc0
v_cmp_lt_u32 s[52:53], v4, s[sgprSizeI]            // coord0 < size0
v_cmp_lt_u32 s[56:57], v1, s[sgprSizeJ]            // coord1 < size1
s_and_b64 s[56:57], s[52:53], s[56:57]             // in0 && in1
_v_add_lshl_u32 v16, v2, v4, 0x1                   // scaleToBpe: accumulate d0 lower and *= bpe into Cin addr
v_cndmask_b32 v16, -1, v16, s[56:57]               // LDC clip if OOB. offset
_buffer_load_d16_b16 v17, v16, s[sgprSrdC:sgprSrdC+3], 0, offen offset:0,  sc0 sc1 // load C for beta calc
_v_add_lshl_u32 v16, v3, v4, 0x1                   // scaleToBpe: accumulate d0 lower and *= bpe into Cin addr
v_cndmask_b32 v16, -1, v16, s[56:57]               // LDD clip if OOB. offset
/* (d1,vc1,d0,vc0)=(0,0,0,3) */
_v_add_co_u32 v4, vcc, v0, 3                       // coord0.1: coord0 += d0*sg0*VW + vc0
v_cmp_lt_u32 s[52:53], v4, s[sgprSizeI]            // coord0 < size0
v_cmp_lt_u32 s[56:57], v1, s[sgprSizeJ]            // coord1 < size1
s_and_b64 s[56:57], s[52:53], s[56:57]             // in0 && in1
_v_add_lshl_u32 v19, v2, v4, 0x1                   // scaleToBpe: accumulate d0 lower and *= bpe into Cin addr
v_cndmask_b32 v19, -1, v19, s[56:57]               // LDC clip if OOB. offset
_buffer_load_d16_b16 v20, v19, s[sgprSrdC:sgprSrdC+3], 0, offen offset:0,  sc0 sc1 // load C for beta calc
_v_add_lshl_u32 v19, v3, v4, 0x1                   // scaleToBpe: accumulate d0 lower and *= bpe into Cin addr
v_cndmask_b32 v19, -1, v19, s[56:57]               // LDD clip if OOB. offset
/* (d1,vc1,d0,vc0)=(0,1,0,0) */
_v_add_co_u32 v1, vcc, v1, 1                       // coord1.1: coord1Vgpr += d1*sg1*VW + vc1

/* Fix for UseInitialStridesCD, emitAddressSetupCode */
_v_add_u32 v2, v2, s[sgprStrideC1J]                // ROWINC- Move cinRowPtr to next row
_v_add_u32 v3, v3, s[sgprStrideD1J]                // Move coutRowPtr to next row
v_cmp_lt_u32 s[52:53], v0, s[sgprSizeI]            // coord0 < size0
v_cmp_lt_u32 s[56:57], v1, s[sgprSizeJ]            // coord1 < size1
s_and_b64 s[56:57], s[52:53], s[56:57]             // in0 && in1
_v_add_lshl_u32 v22, v2, v0, 0x1                   // scaleToBpe: accumulate d0 lower and *= bpe into Cin addr
v_cndmask_b32 v22, -1, v22, s[56:57]               // LDC clip if OOB. offset
_buffer_load_d16_b16 v23, v22, s[sgprSrdC:sgprSrdC+3], 0, offen offset:0,  sc0 sc1 // load C for beta calc
_v_add_lshl_u32 v22, v3, v0, 0x1                   // scaleToBpe: accumulate d0 lower and *= bpe into Cin addr
v_cndmask_b32 v22, -1, v22, s[56:57]               // LDD clip if OOB. offset
/* (d1,vc1,d0,vc0)=(0,1,0,1) */
_v_add_co_u32 v4, vcc, v0, 1                       // coord0.1: coord0 += d0*sg0*VW + vc0
v_cmp_lt_u32 s[52:53], v4, s[sgprSizeI]            // coord0 < size0
v_cmp_lt_u32 s[56:57], v1, s[sgprSizeJ]            // coord1 < size1
s_and_b64 s[56:57], s[52:53], s[56:57]             // in0 && in1
_v_add_lshl_u32 v25, v2, v4, 0x1                   // scaleToBpe: accumulate d0 lower and *= bpe into Cin addr
v_cndmask_b32 v25, -1, v25, s[56:57]               // LDC clip if OOB. offset
_buffer_load_d16_b16 v26, v25, s[sgprSrdC:sgprSrdC+3], 0, offen offset:0,  sc0 sc1 // load C for beta calc
_v_add_lshl_u32 v25, v3, v4, 0x1                   // scaleToBpe: accumulate d0 lower and *= bpe into Cin addr
v_cndmask_b32 v25, -1, v25, s[56:57]               // LDD clip if OOB. offset
/* (d1,vc1,d0,vc0)=(0,1,0,2) */
_v_add_co_u32 v4, vcc, v0, 2                       // coord0.1: coord0 += d0*sg0*VW + vc0
v_cmp_lt_u32 s[52:53], v4, s[sgprSizeI]            // coord0 < size0
v_cmp_lt_u32 s[56:57], v1, s[sgprSizeJ]            // coord1 < size1
s_and_b64 s[56:57], s[52:53], s[56:57]             // in0 && in1
_v_add_lshl_u32 v28, v2, v4, 0x1                   // scaleToBpe: accumulate d0 lower and *= bpe into Cin addr
v_cndmask_b32 v28, -1, v28, s[56:57]               // LDC clip if OOB. offset
_buffer_load_d16_b16 v29, v28, s[sgprSrdC:sgprSrdC+3], 0, offen offset:0,  sc0 sc1 // load C for beta calc
_v_add_lshl_u32 v28, v3, v4, 0x1                   // scaleToBpe: accumulate d0 lower and *= bpe into Cin addr
v_cndmask_b32 v28, -1, v28, s[56:57]               // LDD clip if OOB. offset
/* (d1,vc1,d0,vc0)=(0,1,0,3) */
_v_add_co_u32 v4, vcc, v0, 3                       // coord0.1: coord0 += d0*sg0*VW + vc0
v_cmp_lt_u32 s[52:53], v4, s[sgprSizeI]            // coord0 < size0
v_cmp_lt_u32 s[56:57], v1, s[sgprSizeJ]            // coord1 < size1
s_and_b64 s[56:57], s[52:53], s[56:57]             // in0 && in1
_v_add_lshl_u32 v31, v2, v4, 0x1                   // scaleToBpe: accumulate d0 lower and *= bpe into Cin addr
v_cndmask_b32 v31, -1, v31, s[56:57]               // LDC clip if OOB. offset
_buffer_load_d16_b16 v32, v31, s[sgprSrdC:sgprSrdC+3], 0, offen offset:0,  sc0 sc1 // load C for beta calc
_v_add_lshl_u32 v31, v3, v4, 0x1                   // scaleToBpe: accumulate d0 lower and *= bpe into Cin addr
v_cndmask_b32 v31, -1, v31, s[56:57]               // LDD clip if OOB. offset
/* (d1,vc1,d0,vc0)=(0,2,0,0) */
_v_add_co_u32 v1, vcc, v1, 1                       // coord1.1: coord1Vgpr += d1*sg1*VW + vc1

/* Fix for UseInitialStridesCD, emitAddressSetupCode */
_v_add_u32 v2, v2, s[sgprStrideC1J]                // ROWINC- Move cinRowPtr to next row
_v_add_u32 v3, v3, s[sgprStrideD1J]                // Move coutRowPtr to next row
	;; [unrolled: 44-line block ×7, first 2 shown]
v_cmp_lt_u32 s[52:53], v0, s[sgprSizeI]            // coord0 < size0
v_cmp_lt_u32 s[56:57], v1, s[sgprSizeJ]            // coord1 < size1
s_and_b64 s[56:57], s[52:53], s[56:57]             // in0 && in1
_v_add_lshl_u32 v94, v2, v0, 0x1                   // scaleToBpe: accumulate d0 lower and *= bpe into Cin addr
v_cndmask_b32 v94, -1, v94, s[56:57]               // LDC clip if OOB. offset
_buffer_load_d16_b16 v95, v94, s[sgprSrdC:sgprSrdC+3], 0, offen offset:0,  sc0 sc1 // load C for beta calc
_v_add_lshl_u32 v94, v3, v0, 0x1                   // scaleToBpe: accumulate d0 lower and *= bpe into Cin addr
v_cndmask_b32 v94, -1, v94, s[56:57]               // LDD clip if OOB. offset
/* (d1,vc1,d0,vc0)=(0,7,0,1) */
_v_add_co_u32 v4, vcc, v0, 1                       // coord0.1: coord0 += d0*sg0*VW + vc0
v_cmp_lt_u32 s[52:53], v4, s[sgprSizeI]            // coord0 < size0
v_cmp_lt_u32 s[56:57], v1, s[sgprSizeJ]            // coord1 < size1
s_and_b64 s[56:57], s[52:53], s[56:57]             // in0 && in1
_v_add_lshl_u32 v97, v2, v4, 0x1                   // scaleToBpe: accumulate d0 lower and *= bpe into Cin addr
v_cndmask_b32 v97, -1, v97, s[56:57]               // LDC clip if OOB. offset
_buffer_load_d16_b16 v98, v97, s[sgprSrdC:sgprSrdC+3], 0, offen offset:0,  sc0 sc1 // load C for beta calc
_v_add_lshl_u32 v97, v3, v4, 0x1                   // scaleToBpe: accumulate d0 lower and *= bpe into Cin addr
v_cndmask_b32 v97, -1, v97, s[56:57]               // LDD clip if OOB. offset
/* (d1,vc1,d0,vc0)=(0,7,0,2) */
_v_add_co_u32 v4, vcc, v0, 2                       // coord0.1: coord0 += d0*sg0*VW + vc0
v_cmp_lt_u32 s[52:53], v4, s[sgprSizeI]            // coord0 < size0
v_cmp_lt_u32 s[56:57], v1, s[sgprSizeJ]            // coord1 < size1
s_and_b64 s[56:57], s[52:53], s[56:57]             // in0 && in1
_v_add_lshl_u32 v100, v2, v4, 0x1                  // scaleToBpe: accumulate d0 lower and *= bpe into Cin addr
v_cndmask_b32 v100, -1, v100, s[56:57]             // LDC clip if OOB. offset
_buffer_load_d16_b16 v101, v100, s[sgprSrdC:sgprSrdC+3], 0, offen offset:0,  sc0 sc1 // load C for beta calc
_v_add_lshl_u32 v100, v3, v4, 0x1                  // scaleToBpe: accumulate d0 lower and *= bpe into Cin addr
v_cndmask_b32 v100, -1, v100, s[56:57]             // LDD clip if OOB. offset
/* (d1,vc1,d0,vc0)=(0,7,0,3) */
_v_add_co_u32 v4, vcc, v0, 3                       // coord0.1: coord0 += d0*sg0*VW + vc0
v_cmp_lt_u32 s[52:53], v4, s[sgprSizeI]            // coord0 < size0
v_cmp_lt_u32 s[56:57], v1, s[sgprSizeJ]            // coord1 < size1
s_and_b64 s[56:57], s[52:53], s[56:57]             // in0 && in1
_v_add_lshl_u32 v103, v2, v4, 0x1                  // scaleToBpe: accumulate d0 lower and *= bpe into Cin addr
v_cndmask_b32 v103, -1, v103, s[56:57]             // LDC clip if OOB. offset
_buffer_load_d16_b16 v104, v103, s[sgprSrdC:sgprSrdC+3], 0, offen offset:0,  sc0 sc1 // load C for beta calc
_v_add_lshl_u32 v103, v3, v4, 0x1                  // scaleToBpe: accumulate d0 lower and *= bpe into Cin addr
v_cndmask_b32 v103, -1, v103, s[56:57]             // LDD clip if OOB. offset
/* (d1,vc1,d0,vc0)=(1,0,0,0) */
_v_add_co_u32 v1, vcc, v1, 25                      // coord1.1: coord1Vgpr += d1*sg1*VW + vc1

/* Fix for UseInitialStridesCD, emitAddressSetupCode */
s_mul_i32 s52, s[sgprStrideC1J], 25                // scale stride
_v_add_u32 v2, v2, s52                             // ROWINC- Move cinRowPtr to next row
s_mul_i32 s52, s[sgprStrideD1J], 25                // scale stride
_v_add_u32 v3, v3, s52                             // Move coutRowPtr to next row
v_cmp_lt_u32 s[52:53], v0, s[sgprSizeI]            // coord0 < size0
v_cmp_lt_u32 s[56:57], v1, s[sgprSizeJ]            // coord1 < size1
s_and_b64 s[56:57], s[52:53], s[56:57]             // in0 && in1
_v_add_lshl_u32 v106, v2, v0, 0x1                  // scaleToBpe: accumulate d0 lower and *= bpe into Cin addr
v_cndmask_b32 v106, -1, v106, s[56:57]             // LDC clip if OOB. offset
_buffer_load_d16_b16 v107, v106, s[sgprSrdC:sgprSrdC+3], 0, offen offset:0,  sc0 sc1 // load C for beta calc
_v_add_lshl_u32 v106, v3, v0, 0x1                  // scaleToBpe: accumulate d0 lower and *= bpe into Cin addr
v_cndmask_b32 v106, -1, v106, s[56:57]             // LDD clip if OOB. offset
/* (d1,vc1,d0,vc0)=(1,0,0,1) */
_v_add_co_u32 v4, vcc, v0, 1                       // coord0.1: coord0 += d0*sg0*VW + vc0
v_cmp_lt_u32 s[52:53], v4, s[sgprSizeI]            // coord0 < size0
v_cmp_lt_u32 s[56:57], v1, s[sgprSizeJ]            // coord1 < size1
s_and_b64 s[56:57], s[52:53], s[56:57]             // in0 && in1
_v_add_lshl_u32 v109, v2, v4, 0x1                  // scaleToBpe: accumulate d0 lower and *= bpe into Cin addr
v_cndmask_b32 v109, -1, v109, s[56:57]             // LDC clip if OOB. offset
_buffer_load_d16_b16 v110, v109, s[sgprSrdC:sgprSrdC+3], 0, offen offset:0,  sc0 sc1 // load C for beta calc
_v_add_lshl_u32 v109, v3, v4, 0x1                  // scaleToBpe: accumulate d0 lower and *= bpe into Cin addr
v_cndmask_b32 v109, -1, v109, s[56:57]             // LDD clip if OOB. offset
/* (d1,vc1,d0,vc0)=(1,0,0,2) */
_v_add_co_u32 v4, vcc, v0, 2                       // coord0.1: coord0 += d0*sg0*VW + vc0
v_cmp_lt_u32 s[52:53], v4, s[sgprSizeI]            // coord0 < size0
v_cmp_lt_u32 s[56:57], v1, s[sgprSizeJ]            // coord1 < size1
s_and_b64 s[56:57], s[52:53], s[56:57]             // in0 && in1
_v_add_lshl_u32 v112, v2, v4, 0x1                  // scaleToBpe: accumulate d0 lower and *= bpe into Cin addr
v_cndmask_b32 v112, -1, v112, s[56:57]             // LDC clip if OOB. offset
_buffer_load_d16_b16 v113, v112, s[sgprSrdC:sgprSrdC+3], 0, offen offset:0,  sc0 sc1 // load C for beta calc
_v_add_lshl_u32 v112, v3, v4, 0x1                  // scaleToBpe: accumulate d0 lower and *= bpe into Cin addr
v_cndmask_b32 v112, -1, v112, s[56:57]             // LDD clip if OOB. offset
/* (d1,vc1,d0,vc0)=(1,0,0,3) */
_v_add_co_u32 v4, vcc, v0, 3                       // coord0.1: coord0 += d0*sg0*VW + vc0
v_cmp_lt_u32 s[52:53], v4, s[sgprSizeI]            // coord0 < size0
v_cmp_lt_u32 s[56:57], v1, s[sgprSizeJ]            // coord1 < size1
s_and_b64 s[56:57], s[52:53], s[56:57]             // in0 && in1
_v_add_lshl_u32 v115, v2, v4, 0x1                  // scaleToBpe: accumulate d0 lower and *= bpe into Cin addr
v_cndmask_b32 v115, -1, v115, s[56:57]             // LDC clip if OOB. offset
_buffer_load_d16_b16 v116, v115, s[sgprSrdC:sgprSrdC+3], 0, offen offset:0,  sc0 sc1 // load C for beta calc
_v_add_lshl_u32 v115, v3, v4, 0x1                  // scaleToBpe: accumulate d0 lower and *= bpe into Cin addr
v_cndmask_b32 v115, -1, v115, s[56:57]             // LDD clip if OOB. offset
/* (d1,vc1,d0,vc0)=(1,1,0,0) */
_v_add_co_u32 v1, vcc, v1, 1                       // coord1.1: coord1Vgpr += d1*sg1*VW + vc1

/* Fix for UseInitialStridesCD, emitAddressSetupCode */
_v_add_u32 v2, v2, s[sgprStrideC1J]                // ROWINC- Move cinRowPtr to next row
_v_add_u32 v3, v3, s[sgprStrideD1J]                // Move coutRowPtr to next row
v_cmp_lt_u32 s[52:53], v0, s[sgprSizeI]            // coord0 < size0
v_cmp_lt_u32 s[56:57], v1, s[sgprSizeJ]            // coord1 < size1
s_and_b64 s[56:57], s[52:53], s[56:57]             // in0 && in1
_v_add_lshl_u32 v118, v2, v0, 0x1                  // scaleToBpe: accumulate d0 lower and *= bpe into Cin addr
v_cndmask_b32 v118, -1, v118, s[56:57]             // LDC clip if OOB. offset
_buffer_load_d16_b16 v119, v118, s[sgprSrdC:sgprSrdC+3], 0, offen offset:0,  sc0 sc1 // load C for beta calc
_v_add_lshl_u32 v118, v3, v0, 0x1                  // scaleToBpe: accumulate d0 lower and *= bpe into Cin addr
v_cndmask_b32 v118, -1, v118, s[56:57]             // LDD clip if OOB. offset
/* (d1,vc1,d0,vc0)=(1,1,0,1) */
_v_add_co_u32 v4, vcc, v0, 1                       // coord0.1: coord0 += d0*sg0*VW + vc0
v_cmp_lt_u32 s[52:53], v4, s[sgprSizeI]            // coord0 < size0
v_cmp_lt_u32 s[56:57], v1, s[sgprSizeJ]            // coord1 < size1
s_and_b64 s[56:57], s[52:53], s[56:57]             // in0 && in1
_v_add_lshl_u32 v121, v2, v4, 0x1                  // scaleToBpe: accumulate d0 lower and *= bpe into Cin addr
v_cndmask_b32 v121, -1, v121, s[56:57]             // LDC clip if OOB. offset
_buffer_load_d16_b16 v122, v121, s[sgprSrdC:sgprSrdC+3], 0, offen offset:0,  sc0 sc1 // load C for beta calc
_v_add_lshl_u32 v121, v3, v4, 0x1                  // scaleToBpe: accumulate d0 lower and *= bpe into Cin addr
v_cndmask_b32 v121, -1, v121, s[56:57]             // LDD clip if OOB. offset
/* (d1,vc1,d0,vc0)=(1,1,0,2) */
_v_add_co_u32 v4, vcc, v0, 2                       // coord0.1: coord0 += d0*sg0*VW + vc0
v_cmp_lt_u32 s[52:53], v4, s[sgprSizeI]            // coord0 < size0
v_cmp_lt_u32 s[56:57], v1, s[sgprSizeJ]            // coord1 < size1
s_and_b64 s[56:57], s[52:53], s[56:57]             // in0 && in1
_v_add_lshl_u32 v124, v2, v4, 0x1                  // scaleToBpe: accumulate d0 lower and *= bpe into Cin addr
v_cndmask_b32 v124, -1, v124, s[56:57]             // LDC clip if OOB. offset
_buffer_load_d16_b16 v125, v124, s[sgprSrdC:sgprSrdC+3], 0, offen offset:0,  sc0 sc1 // load C for beta calc
_v_add_lshl_u32 v124, v3, v4, 0x1                  // scaleToBpe: accumulate d0 lower and *= bpe into Cin addr
v_cndmask_b32 v124, -1, v124, s[56:57]             // LDD clip if OOB. offset
/* (d1,vc1,d0,vc0)=(1,1,0,3) */
_v_add_co_u32 v4, vcc, v0, 3                       // coord0.1: coord0 += d0*sg0*VW + vc0
v_cmp_lt_u32 s[52:53], v4, s[sgprSizeI]            // coord0 < size0
v_cmp_lt_u32 s[56:57], v1, s[sgprSizeJ]            // coord1 < size1
s_and_b64 s[56:57], s[52:53], s[56:57]             // in0 && in1
_v_add_lshl_u32 v127, v2, v4, 0x1                  // scaleToBpe: accumulate d0 lower and *= bpe into Cin addr
v_cndmask_b32 v127, -1, v127, s[56:57]             // LDC clip if OOB. offset
_buffer_load_d16_b16 v128, v127, s[sgprSrdC:sgprSrdC+3], 0, offen offset:0,  sc0 sc1 // load C for beta calc
_v_add_lshl_u32 v127, v3, v4, 0x1                  // scaleToBpe: accumulate d0 lower and *= bpe into Cin addr
v_cndmask_b32 v127, -1, v127, s[56:57]             // LDD clip if OOB. offset
/* (d1,vc1,d0,vc0)=(1,2,0,0) */
_v_add_co_u32 v1, vcc, v1, 1                       // coord1.1: coord1Vgpr += d1*sg1*VW + vc1

/* Fix for UseInitialStridesCD, emitAddressSetupCode */
_v_add_u32 v2, v2, s[sgprStrideC1J]                // ROWINC- Move cinRowPtr to next row
_v_add_u32 v3, v3, s[sgprStrideD1J]                // Move coutRowPtr to next row
	;; [unrolled: 44-line block ×7, first 2 shown]
v_cmp_lt_u32 s[52:53], v0, s[sgprSizeI]            // coord0 < size0
v_cmp_lt_u32 s[56:57], v1, s[sgprSizeJ]            // coord1 < size1
s_and_b64 s[56:57], s[52:53], s[56:57]             // in0 && in1
_v_add_lshl_u32 v190, v2, v0, 0x1                  // scaleToBpe: accumulate d0 lower and *= bpe into Cin addr
v_cndmask_b32 v190, -1, v190, s[56:57]             // LDC clip if OOB. offset
_buffer_load_d16_b16 v191, v190, s[sgprSrdC:sgprSrdC+3], 0, offen offset:0,  sc0 sc1 // load C for beta calc
_v_add_lshl_u32 v190, v3, v0, 0x1                  // scaleToBpe: accumulate d0 lower and *= bpe into Cin addr
v_cndmask_b32 v190, -1, v190, s[56:57]             // LDD clip if OOB. offset
/* (d1,vc1,d0,vc0)=(1,7,0,1) */
_v_add_co_u32 v4, vcc, v0, 1                       // coord0.1: coord0 += d0*sg0*VW + vc0
v_cmp_lt_u32 s[52:53], v4, s[sgprSizeI]            // coord0 < size0
v_cmp_lt_u32 s[56:57], v1, s[sgprSizeJ]            // coord1 < size1
s_and_b64 s[56:57], s[52:53], s[56:57]             // in0 && in1
_v_add_lshl_u32 v193, v2, v4, 0x1                  // scaleToBpe: accumulate d0 lower and *= bpe into Cin addr
v_cndmask_b32 v193, -1, v193, s[56:57]             // LDC clip if OOB. offset
_buffer_load_d16_b16 v194, v193, s[sgprSrdC:sgprSrdC+3], 0, offen offset:0,  sc0 sc1 // load C for beta calc
_v_add_lshl_u32 v193, v3, v4, 0x1                  // scaleToBpe: accumulate d0 lower and *= bpe into Cin addr
v_cndmask_b32 v193, -1, v193, s[56:57]             // LDD clip if OOB. offset
/* (d1,vc1,d0,vc0)=(1,7,0,2) */
_v_add_co_u32 v4, vcc, v0, 2                       // coord0.1: coord0 += d0*sg0*VW + vc0
	;; [unrolled: 10-line block ×3, first 2 shown]
v_cmp_lt_u32 s[52:53], v4, s[sgprSizeI]            // coord0 < size0
v_cmp_lt_u32 s[56:57], v1, s[sgprSizeJ]            // coord1 < size1
s_and_b64 s[56:57], s[52:53], s[56:57]             // in0 && in1
_v_add_lshl_u32 v199, v2, v4, 0x1                  // scaleToBpe: accumulate d0 lower and *= bpe into Cin addr
v_cndmask_b32 v199, -1, v199, s[56:57]             // LDC clip if OOB. offset
_buffer_load_d16_b16 v200, v199, s[sgprSrdC:sgprSrdC+3], 0, offen offset:0,  sc0 sc1 // load C for beta calc
_v_add_lshl_u32 v199, v3, v4, 0x1                  // scaleToBpe: accumulate d0 lower and *= bpe into Cin addr
v_cndmask_b32 v199, -1, v199, s[56:57]             // LDD clip if OOB. offset
/* (d1,vc1,d0,vc0)=(2,0,0,0) */
_v_add_co_u32 v1, vcc, v1, 25                      // coord1.1: coord1Vgpr += d1*sg1*VW + vc1

/* Fix for UseInitialStridesCD, emitAddressSetupCode */
s_mul_i32 s52, s[sgprStrideC1J], 25                // scale stride
_v_add_u32 v2, v2, s52                             // ROWINC- Move cinRowPtr to next row
s_mul_i32 s52, s[sgprStrideD1J], 25                // scale stride
_v_add_u32 v3, v3, s52                             // Move coutRowPtr to next row
v_cmp_lt_u32 s[52:53], v0, s[sgprSizeI]            // coord0 < size0
v_cmp_lt_u32 s[56:57], v1, s[sgprSizeJ]            // coord1 < size1
s_and_b64 s[56:57], s[52:53], s[56:57]             // in0 && in1
_v_add_lshl_u32 v202, v2, v0, 0x1                  // scaleToBpe: accumulate d0 lower and *= bpe into Cin addr
v_cndmask_b32 v202, -1, v202, s[56:57]             // LDC clip if OOB. offset
_buffer_load_d16_b16 v203, v202, s[sgprSrdC:sgprSrdC+3], 0, offen offset:0,  sc0 sc1 // load C for beta calc
_v_add_lshl_u32 v202, v3, v0, 0x1                  // scaleToBpe: accumulate d0 lower and *= bpe into Cin addr
v_cndmask_b32 v202, -1, v202, s[56:57]             // LDD clip if OOB. offset
/* (d1,vc1,d0,vc0)=(2,0,0,1) */
_v_add_co_u32 v4, vcc, v0, 1                       // coord0.1: coord0 += d0*sg0*VW + vc0
v_cmp_lt_u32 s[52:53], v4, s[sgprSizeI]            // coord0 < size0
v_cmp_lt_u32 s[56:57], v1, s[sgprSizeJ]            // coord1 < size1
s_and_b64 s[56:57], s[52:53], s[56:57]             // in0 && in1
_v_add_lshl_u32 v205, v2, v4, 0x1                  // scaleToBpe: accumulate d0 lower and *= bpe into Cin addr
v_cndmask_b32 v205, -1, v205, s[56:57]             // LDC clip if OOB. offset
_buffer_load_d16_b16 v206, v205, s[sgprSrdC:sgprSrdC+3], 0, offen offset:0,  sc0 sc1 // load C for beta calc
_v_add_lshl_u32 v205, v3, v4, 0x1                  // scaleToBpe: accumulate d0 lower and *= bpe into Cin addr
v_cndmask_b32 v205, -1, v205, s[56:57]             // LDD clip if OOB. offset
/* (d1,vc1,d0,vc0)=(2,0,0,2) */
_v_add_co_u32 v4, vcc, v0, 2                       // coord0.1: coord0 += d0*sg0*VW + vc0
v_cmp_lt_u32 s[52:53], v4, s[sgprSizeI]            // coord0 < size0
v_cmp_lt_u32 s[56:57], v1, s[sgprSizeJ]            // coord1 < size1
s_and_b64 s[56:57], s[52:53], s[56:57]             // in0 && in1
_v_add_lshl_u32 v208, v2, v4, 0x1                  // scaleToBpe: accumulate d0 lower and *= bpe into Cin addr
v_cndmask_b32 v208, -1, v208, s[56:57]             // LDC clip if OOB. offset
_buffer_load_d16_b16 v209, v208, s[sgprSrdC:sgprSrdC+3], 0, offen offset:0,  sc0 sc1 // load C for beta calc
_v_add_lshl_u32 v208, v3, v4, 0x1                  // scaleToBpe: accumulate d0 lower and *= bpe into Cin addr
v_cndmask_b32 v208, -1, v208, s[56:57]             // LDD clip if OOB. offset
/* (d1,vc1,d0,vc0)=(2,0,0,3) */
_v_add_co_u32 v4, vcc, v0, 3                       // coord0.1: coord0 += d0*sg0*VW + vc0
v_cmp_lt_u32 s[52:53], v4, s[sgprSizeI]            // coord0 < size0
v_cmp_lt_u32 s[56:57], v1, s[sgprSizeJ]            // coord1 < size1
s_and_b64 s[56:57], s[52:53], s[56:57]             // in0 && in1
_v_add_lshl_u32 v211, v2, v4, 0x1                  // scaleToBpe: accumulate d0 lower and *= bpe into Cin addr
v_cndmask_b32 v211, -1, v211, s[56:57]             // LDC clip if OOB. offset
_buffer_load_d16_b16 v212, v211, s[sgprSrdC:sgprSrdC+3], 0, offen offset:0,  sc0 sc1 // load C for beta calc
_v_add_lshl_u32 v211, v3, v4, 0x1                  // scaleToBpe: accumulate d0 lower and *= bpe into Cin addr
v_cndmask_b32 v211, -1, v211, s[56:57]             // LDD clip if OOB. offset
/* (d1,vc1,d0,vc0)=(2,1,0,0) */
_v_add_co_u32 v1, vcc, v1, 1                       // coord1.1: coord1Vgpr += d1*sg1*VW + vc1

/* Fix for UseInitialStridesCD, emitAddressSetupCode */
_v_add_u32 v2, v2, s[sgprStrideC1J]                // ROWINC- Move cinRowPtr to next row
_v_add_u32 v3, v3, s[sgprStrideD1J]                // Move coutRowPtr to next row
v_cmp_lt_u32 s[52:53], v0, s[sgprSizeI]            // coord0 < size0
v_cmp_lt_u32 s[56:57], v1, s[sgprSizeJ]            // coord1 < size1
s_and_b64 s[56:57], s[52:53], s[56:57]             // in0 && in1
_v_add_lshl_u32 v214, v2, v0, 0x1                  // scaleToBpe: accumulate d0 lower and *= bpe into Cin addr
v_cndmask_b32 v214, -1, v214, s[56:57]             // LDC clip if OOB. offset
_buffer_load_d16_b16 v215, v214, s[sgprSrdC:sgprSrdC+3], 0, offen offset:0,  sc0 sc1 // load C for beta calc
_v_add_lshl_u32 v214, v3, v0, 0x1                  // scaleToBpe: accumulate d0 lower and *= bpe into Cin addr
v_cndmask_b32 v214, -1, v214, s[56:57]             // LDD clip if OOB. offset
/* (d1,vc1,d0,vc0)=(2,1,0,1) */
_v_add_co_u32 v4, vcc, v0, 1                       // coord0.1: coord0 += d0*sg0*VW + vc0
v_cmp_lt_u32 s[52:53], v4, s[sgprSizeI]            // coord0 < size0
v_cmp_lt_u32 s[56:57], v1, s[sgprSizeJ]            // coord1 < size1
s_and_b64 s[56:57], s[52:53], s[56:57]             // in0 && in1
_v_add_lshl_u32 v217, v2, v4, 0x1                  // scaleToBpe: accumulate d0 lower and *= bpe into Cin addr
v_cndmask_b32 v217, -1, v217, s[56:57]             // LDC clip if OOB. offset
_buffer_load_d16_b16 v220, v217, s[sgprSrdC:sgprSrdC+3], 0, offen offset:0,  sc0 sc1 // load C for beta calc
_v_add_lshl_u32 v217, v3, v4, 0x1                  // scaleToBpe: accumulate d0 lower and *= bpe into Cin addr
v_cndmask_b32 v217, -1, v217, s[56:57]             // LDD clip if OOB. offset
/* (d1,vc1,d0,vc0)=(2,1,0,2) */
_v_add_co_u32 v4, vcc, v0, 2                       // coord0.1: coord0 += d0*sg0*VW + vc0
v_cmp_lt_u32 s[52:53], v4, s[sgprSizeI]            // coord0 < size0
v_cmp_lt_u32 s[56:57], v1, s[sgprSizeJ]            // coord1 < size1
s_and_b64 s[56:57], s[52:53], s[56:57]             // in0 && in1
_v_add_lshl_u32 v222, v2, v4, 0x1                  // scaleToBpe: accumulate d0 lower and *= bpe into Cin addr
v_cndmask_b32 v222, -1, v222, s[56:57]             // LDC clip if OOB. offset
_buffer_load_d16_b16 v223, v222, s[sgprSrdC:sgprSrdC+3], 0, offen offset:0,  sc0 sc1 // load C for beta calc
_v_add_lshl_u32 v222, v3, v4, 0x1                  // scaleToBpe: accumulate d0 lower and *= bpe into Cin addr
v_cndmask_b32 v222, -1, v222, s[56:57]             // LDD clip if OOB. offset
/* (d1,vc1,d0,vc0)=(2,1,0,3) */
_v_add_co_u32 v4, vcc, v0, 3                       // coord0.1: coord0 += d0*sg0*VW + vc0
v_cmp_lt_u32 s[52:53], v4, s[sgprSizeI]            // coord0 < size0
v_cmp_lt_u32 s[56:57], v1, s[sgprSizeJ]            // coord1 < size1
s_and_b64 s[56:57], s[52:53], s[56:57]             // in0 && in1
_v_add_lshl_u32 v225, v2, v4, 0x1                  // scaleToBpe: accumulate d0 lower and *= bpe into Cin addr
v_cndmask_b32 v225, -1, v225, s[56:57]             // LDC clip if OOB. offset
_buffer_load_d16_b16 v226, v225, s[sgprSrdC:sgprSrdC+3], 0, offen offset:0,  sc0 sc1 // load C for beta calc
_v_add_lshl_u32 v225, v3, v4, 0x1                  // scaleToBpe: accumulate d0 lower and *= bpe into Cin addr
v_cndmask_b32 v225, -1, v225, s[56:57]             // LDD clip if OOB. offset
/* (d1,vc1,d0,vc0)=(2,2,0,0) */
_v_add_co_u32 v1, vcc, v1, 1                       // coord1.1: coord1Vgpr += d1*sg1*VW + vc1

/* Fix for UseInitialStridesCD, emitAddressSetupCode */
_v_add_u32 v2, v2, s[sgprStrideC1J]                // ROWINC- Move cinRowPtr to next row
_v_add_u32 v3, v3, s[sgprStrideD1J]                // Move coutRowPtr to next row
	;; [unrolled: 44-line block ×3, first 2 shown]
v_cmp_lt_u32 s[52:53], v0, s[sgprSizeI]            // coord0 < size0
v_cmp_lt_u32 s[56:57], v1, s[sgprSizeJ]            // coord1 < size1
s_and_b64 s[56:57], s[52:53], s[56:57]             // in0 && in1
_v_add_lshl_u32 v240, v2, v0, 0x1                  // scaleToBpe: accumulate d0 lower and *= bpe into Cin addr
v_cndmask_b32 v240, -1, v240, s[56:57]             // LDC clip if OOB. offset
_buffer_load_d16_b16 v241, v240, s[sgprSrdC:sgprSrdC+3], 0, offen offset:0,  sc0 sc1 // load C for beta calc
_v_add_lshl_u32 v240, v3, v0, 0x1                  // scaleToBpe: accumulate d0 lower and *= bpe into Cin addr
v_cndmask_b32 v240, -1, v240, s[56:57]             // LDD clip if OOB. offset
/* (d1,vc1,d0,vc0)=(2,3,0,1) */
_v_add_co_u32 v4, vcc, v0, 1                       // coord0.1: coord0 += d0*sg0*VW + vc0
v_cmp_lt_u32 s[52:53], v4, s[sgprSizeI]            // coord0 < size0
v_cmp_lt_u32 s[56:57], v1, s[sgprSizeJ]            // coord1 < size1
s_and_b64 s[56:57], s[52:53], s[56:57]             // in0 && in1
_v_add_lshl_u32 v243, v2, v4, 0x1                  // scaleToBpe: accumulate d0 lower and *= bpe into Cin addr
v_cndmask_b32 v243, -1, v243, s[56:57]             // LDC clip if OOB. offset
_buffer_load_d16_b16 v244, v243, s[sgprSrdC:sgprSrdC+3], 0, offen offset:0,  sc0 sc1 // load C for beta calc
_v_add_lshl_u32 v243, v3, v4, 0x1                  // scaleToBpe: accumulate d0 lower and *= bpe into Cin addr
v_cndmask_b32 v243, -1, v243, s[56:57]             // LDD clip if OOB. offset
/* (d1,vc1,d0,vc0)=(2,3,0,2) */
_v_add_co_u32 v4, vcc, v0, 2                       // coord0.1: coord0 += d0*sg0*VW + vc0
	;; [unrolled: 10-line block ×3, first 2 shown]
v_cmp_lt_u32 s[52:53], v4, s[sgprSizeI]            // coord0 < size0
v_cmp_lt_u32 s[56:57], v1, s[sgprSizeJ]            // coord1 < size1
s_and_b64 s[56:57], s[52:53], s[56:57]             // in0 && in1
_v_add_lshl_u32 v249, v2, v4, 0x1                  // scaleToBpe: accumulate d0 lower and *= bpe into Cin addr
v_cndmask_b32 v249, -1, v249, s[56:57]             // LDC clip if OOB. offset
_buffer_load_d16_b16 v250, v249, s[sgprSrdC:sgprSrdC+3], 0, offen offset:0,  sc0 sc1 // load C for beta calc
_v_add_lshl_u32 v249, v3, v4, 0x1                  // scaleToBpe: accumulate d0 lower and *= bpe into Cin addr
v_cndmask_b32 v249, -1, v249, s[56:57]             // LDD clip if OOB. offset
v_accvgpr_read_b32 v[vgprValuC+12], acc0 // copy acc to vreg[0]
v_accvgpr_read_b32 v[vgprValuC+15], acc4 // copy acc to vreg[1]
v_accvgpr_read_b32 v[vgprValuC+18], acc8 // copy acc to vreg[2]
v_accvgpr_read_b32 v[vgprValuC+21], acc12 // copy acc to vreg[3]
v_accvgpr_read_b32 v[vgprValuC+24], acc16 // copy acc to vreg[4]
v_accvgpr_read_b32 v[vgprValuC+27], acc20 // copy acc to vreg[5]
v_accvgpr_read_b32 v[vgprValuC+30], acc24 // copy acc to vreg[6]
v_accvgpr_read_b32 v[vgprValuC+33], acc28 // copy acc to vreg[7]
v_accvgpr_read_b32 v[vgprValuC+36], acc1 // copy acc to vreg[8]
v_accvgpr_read_b32 v[vgprValuC+39], acc5 // copy acc to vreg[9]
v_accvgpr_read_b32 v[vgprValuC+42], acc9 // copy acc to vreg[10]
v_accvgpr_read_b32 v[vgprValuC+45], acc13 // copy acc to vreg[11]
v_accvgpr_read_b32 v[vgprValuC+48], acc17 // copy acc to vreg[12]
v_accvgpr_read_b32 v[vgprValuC+51], acc21 // copy acc to vreg[13]
v_accvgpr_read_b32 v[vgprValuC+54], acc25 // copy acc to vreg[14]
v_accvgpr_read_b32 v[vgprValuC+57], acc29 // copy acc to vreg[15]
v_accvgpr_read_b32 v[vgprValuC+60], acc2 // copy acc to vreg[16]
v_accvgpr_read_b32 v[vgprValuC+63], acc6 // copy acc to vreg[17]
v_accvgpr_read_b32 v[vgprValuC+66], acc10 // copy acc to vreg[18]
v_accvgpr_read_b32 v[vgprValuC+69], acc14 // copy acc to vreg[19]
v_accvgpr_read_b32 v[vgprValuC+72], acc18 // copy acc to vreg[20]
v_accvgpr_read_b32 v[vgprValuC+75], acc22 // copy acc to vreg[21]
v_accvgpr_read_b32 v[vgprValuC+78], acc26 // copy acc to vreg[22]
v_accvgpr_read_b32 v[vgprValuC+81], acc30 // copy acc to vreg[23]
v_accvgpr_read_b32 v[vgprValuC+84], acc3 // copy acc to vreg[24]
v_accvgpr_read_b32 v[vgprValuC+87], acc7 // copy acc to vreg[25]
v_accvgpr_read_b32 v[vgprValuC+90], acc11 // copy acc to vreg[26]
v_accvgpr_read_b32 v[vgprValuC+93], acc15 // copy acc to vreg[27]
v_accvgpr_read_b32 v[vgprValuC+96], acc19 // copy acc to vreg[28]
v_accvgpr_read_b32 v[vgprValuC+99], acc23 // copy acc to vreg[29]
v_accvgpr_read_b32 v[vgprValuC+102], acc27 // copy acc to vreg[30]
v_accvgpr_read_b32 v[vgprValuC+105], acc31 // copy acc to vreg[31]
v_accvgpr_read_b32 v[vgprValuC+108], acc32 // copy acc to vreg[32]
v_accvgpr_read_b32 v[vgprValuC+111], acc36 // copy acc to vreg[33]
v_accvgpr_read_b32 v[vgprValuC+114], acc40 // copy acc to vreg[34]
v_accvgpr_read_b32 v[vgprValuC+117], acc44 // copy acc to vreg[35]
v_accvgpr_read_b32 v[vgprValuC+120], acc48 // copy acc to vreg[36]
v_accvgpr_read_b32 v[vgprValuC+123], acc52 // copy acc to vreg[37]
v_accvgpr_read_b32 v[vgprValuC+126], acc56 // copy acc to vreg[38]
v_accvgpr_read_b32 v[vgprValuC+129], acc60 // copy acc to vreg[39]
v_accvgpr_read_b32 v[vgprValuC+132], acc33 // copy acc to vreg[40]
v_accvgpr_read_b32 v[vgprValuC+135], acc37 // copy acc to vreg[41]
v_accvgpr_read_b32 v[vgprValuC+138], acc41 // copy acc to vreg[42]
v_accvgpr_read_b32 v[vgprValuC+141], acc45 // copy acc to vreg[43]
v_accvgpr_read_b32 v[vgprValuC+144], acc49 // copy acc to vreg[44]
v_accvgpr_read_b32 v[vgprValuC+147], acc53 // copy acc to vreg[45]
v_accvgpr_read_b32 v[vgprValuC+150], acc57 // copy acc to vreg[46]
v_accvgpr_read_b32 v[vgprValuC+153], acc61 // copy acc to vreg[47]
v_accvgpr_read_b32 v[vgprValuC+156], acc34 // copy acc to vreg[48]
v_accvgpr_read_b32 v[vgprValuC+159], acc38 // copy acc to vreg[49]
v_accvgpr_read_b32 v[vgprValuC+162], acc42 // copy acc to vreg[50]
v_accvgpr_read_b32 v[vgprValuC+165], acc46 // copy acc to vreg[51]
v_accvgpr_read_b32 v[vgprValuC+168], acc50 // copy acc to vreg[52]
v_accvgpr_read_b32 v[vgprValuC+171], acc54 // copy acc to vreg[53]
v_accvgpr_read_b32 v[vgprValuC+174], acc58 // copy acc to vreg[54]
v_accvgpr_read_b32 v[vgprValuC+177], acc62 // copy acc to vreg[55]
v_accvgpr_read_b32 v[vgprValuC+180], acc35 // copy acc to vreg[56]
v_accvgpr_read_b32 v[vgprValuC+183], acc39 // copy acc to vreg[57]
v_accvgpr_read_b32 v[vgprValuC+186], acc43 // copy acc to vreg[58]
v_accvgpr_read_b32 v[vgprValuC+189], acc47 // copy acc to vreg[59]
v_accvgpr_read_b32 v[vgprValuC+192], acc51 // copy acc to vreg[60]
v_accvgpr_read_b32 v[vgprValuC+195], acc55 // copy acc to vreg[61]
v_accvgpr_read_b32 v[vgprValuC+198], acc59 // copy acc to vreg[62]
v_accvgpr_read_b32 v[vgprValuC+201], acc63 // copy acc to vreg[63]
v_accvgpr_read_b32 v[vgprValuC+204], acc64 // copy acc to vreg[64]
v_accvgpr_read_b32 v[vgprValuC+207], acc68 // copy acc to vreg[65]
v_accvgpr_read_b32 v[vgprValuC+210], acc72 // copy acc to vreg[66]
v_accvgpr_read_b32 v[vgprValuC+213], acc76 // copy acc to vreg[67]
v_accvgpr_read_b32 v[vgprValuC+216], acc80 // copy acc to vreg[68]
v_accvgpr_read_b32 v[vgprValuC+221], acc84 // copy acc to vreg[69]
v_accvgpr_read_b32 v[vgprValuC+224], acc88 // copy acc to vreg[70]
v_accvgpr_read_b32 v[vgprValuC+227], acc92 // copy acc to vreg[71]
v_accvgpr_read_b32 v[vgprValuC+230], acc65 // copy acc to vreg[72]
v_accvgpr_read_b32 v[vgprValuC+233], acc69 // copy acc to vreg[73]
v_accvgpr_read_b32 v[vgprValuC+236], acc73 // copy acc to vreg[74]
v_accvgpr_read_b32 v[vgprValuC+239], acc77 // copy acc to vreg[75]
v_accvgpr_read_b32 v[vgprValuC+242], acc81 // copy acc to vreg[76]
v_accvgpr_read_b32 v[vgprValuC+245], acc85 // copy acc to vreg[77]
v_accvgpr_read_b32 v[vgprValuC+248], acc89 // copy acc to vreg[78]
v_accvgpr_read_b32 v[vgprValuC+251], acc93 // copy acc to vreg[79]
s_nop 1                                            // 2 wait states required before reading vgpr

/* rC *= alpha batchElements=[(0, 0, 0, 0), (0, 0, 0, 1), (0, 0, 0, 2), (0, 0, 0, 3), (0, 0, 1, 0), (0, 0, 1, 1), (0, 0, 1, 2), (0, 0, 1, 3), (0, 0, 2, 0), (0, 0, 2, 1), (0, 0, 2, 2), (0, 0, 2, 3), (0, 0, 3, 0), (0, 0, 3, 1), (0, 0, 3, 2), (0, 0, 3, 3), (0, 0, 4, 0), (0, 0, 4, 1), (0, 0, 4, 2), (0, 0, 4, 3), (0, 0, 5, 0), (0, 0, 5, 1), (0, 0, 5, 2), (0, 0, 5, 3), (0, 0, 6, 0), (0, 0, 6, 1), (0, 0, 6, 2), (0, 0, 6, 3), (0, 0, 7, 0), (0, 0, 7, 1), (0, 0, 7, 2), (0, 0, 7, 3), (1, 0, 0, 0), (1, 0, 0, 1), (1, 0, 0, 2), (1, 0, 0, 3), (1, 0, 1, 0), (1, 0, 1, 1), (1, 0, 1, 2), (1, 0, 1, 3), (1, 0, 2, 0), (1, 0, 2, 1), (1, 0, 2, 2), (1, 0, 2, 3), (1, 0, 3, 0), (1, 0, 3, 1), (1, 0, 3, 2), (1, 0, 3, 3), (1, 0, 4, 0), (1, 0, 4, 1), (1, 0, 4, 2), (1, 0, 4, 3), (1, 0, 5, 0), (1, 0, 5, 1), (1, 0, 5, 2), (1, 0, 5, 3), (1, 0, 6, 0), (1, 0, 6, 1), (1, 0, 6, 2), (1, 0, 6, 3), (1, 0, 7, 0), (1, 0, 7, 1), (1, 0, 7, 2), (1, 0, 7, 3), (2, 0, 0, 0), (2, 0, 0, 1), (2, 0, 0, 2), (2, 0, 0, 3), (2, 0, 1, 0), (2, 0, 1, 1), (2, 0, 1, 2), (2, 0, 1, 3), (2, 0, 2, 0), (2, 0, 2, 1), (2, 0, 2, 2), (2, 0, 2, 3), (2, 0, 3, 0), (2, 0, 3, 1), (2, 0, 3, 2), (2, 0, 3, 3)] */
v_mul_f32 v[vgprValuC+12], s[sgprAlpha], v[vgprValuC+12] // *= alpha
v_mul_f32 v[vgprValuC+15], s[sgprAlpha], v[vgprValuC+15] // *= alpha
	;; [unrolled: 1-line block ×80, first 2 shown]
s_waitcnt vmcnt(0)                                 // wait C

/* apply mask, calc new C and issue writes */
v_mov_b32 v7, 0xffff0000                           // mask for pack two bfloat16 element to 32bit
v_mov_b32 v8, 0x7fff0000                           // fp32 Nan
v_mov_b32 v9, 0x7fff                               // rounding bias for bfloat16
v_lshlrev_b32 v4, 16, v11                          // convert bf16 to fp32
_v_mac_f32 v[vgprValuC+12], v4, s[sgprBeta]        // finalSum = sum*alpha + C*beta
v_cmp_u_f32 s[52:53], v[vgprValuC+12], v[vgprValuC+12] // check Nan
v_bfe_u32 v6, v[vgprValuC+12], 16, 1               // Non-Nan case: store lsb of bf16
v_add3_u32 v6, v[vgprValuC+12], v6, v9             // Non-Nan case: add lsb and the increment for rounding
v_cndmask_b32 v[vgprValuC+12], v6, v8, s[52:53]    // 
v_lshrrev_b32 v[vgprValuC+12], 16, v[vgprValuC+12] // convert C to bf16
_buffer_store_b16 v12, v10, s[sgprSrdD:sgprSrdD+3], 0, offen, offset:0,  sc0 sc1 // store D
v_lshlrev_b32 v4, 16, v14                          // convert bf16 to fp32
_v_mac_f32 v[vgprValuC+15], v4, s[sgprBeta]        // finalSum = sum*alpha + C*beta
v_cmp_u_f32 s[52:53], v[vgprValuC+15], v[vgprValuC+15] // check Nan
v_bfe_u32 v6, v[vgprValuC+15], 16, 1               // Non-Nan case: store lsb of bf16
v_add3_u32 v6, v[vgprValuC+15], v6, v9             // Non-Nan case: add lsb and the increment for rounding
v_cndmask_b32 v[vgprValuC+15], v6, v8, s[52:53]    // 
v_lshrrev_b32 v[vgprValuC+15], 16, v[vgprValuC+15] // convert C to bf16
_buffer_store_b16 v15, v13, s[sgprSrdD:sgprSrdD+3], 0, offen, offset:0,  sc0 sc1 // store D
	;; [unrolled: 8-line block ×30, first 2 shown]
v_lshlrev_b32 v4, 16, v101                         // convert bf16 to fp32
_v_mac_f32 v[vgprValuC+102], v4, s[sgprBeta]       // finalSum = sum*alpha + C*beta
v_cmp_u_f32 s[52:53], v[vgprValuC+102], v[vgprValuC+102] // check Nan
v_bfe_u32 v6, v[vgprValuC+102], 16, 1              // Non-Nan case: store lsb of bf16
v_add3_u32 v6, v[vgprValuC+102], v6, v9            // Non-Nan case: add lsb and the increment for rounding
v_cndmask_b32 v[vgprValuC+102], v6, v8, s[52:53]   // 
v_lshrrev_b32 v[vgprValuC+102], 16, v[vgprValuC+102] // convert C to bf16
_buffer_store_b16 v102, v100, s[sgprSrdD:sgprSrdD+3], 0, offen, offset:0,  sc0 sc1 // store D
v_lshlrev_b32 v4, 16, v104                         // convert bf16 to fp32
_v_mac_f32 v[vgprValuC+105], v4, s[sgprBeta]       // finalSum = sum*alpha + C*beta
v_cmp_u_f32 s[52:53], v[vgprValuC+105], v[vgprValuC+105] // check Nan
v_bfe_u32 v6, v[vgprValuC+105], 16, 1              // Non-Nan case: store lsb of bf16
v_add3_u32 v6, v[vgprValuC+105], v6, v9            // Non-Nan case: add lsb and the increment for rounding
v_cndmask_b32 v[vgprValuC+105], v6, v8, s[52:53]   // 
v_lshrrev_b32 v[vgprValuC+105], 16, v[vgprValuC+105] // convert C to bf16
_buffer_store_b16 v105, v103, s[sgprSrdD:sgprSrdD+3], 0, offen, offset:0,  sc0 sc1 // store D
	;; [unrolled: 8-line block ×50, first 2 shown]
s_nop 0                                            // 1 wait state required when next inst writes vgprs held by previous dwordx4 store inst
/* optSingleColVgpr=0 optSharedColVgpr=0 optSGPRUsage=BufferLoad_Edge_Mask optSrdIncForRow=0 */

/******************************************/
/* Global Write Alpha Beta Edge Batch #1 (d1,d0,vc1,vc0) = */
/*    (2,0,4,0:vw1); (2,0,4,1:vw1); (2,0,4,2:vw1); (2,0,4,3:vw1); (2,0,5,0:vw1); (2,0,5,1:vw1); (2,0,5,2:vw1); (2,0,5,3:vw1); (2,0,6,0:vw1); (2,0,6,1:vw1); (2,0,6,2:vw1); (2,0,6,3:vw1); (2,0,7,0:vw1); (2,0,7,1:vw1); (2,0,7,2:vw1); (2,0,7,3:vw1); (3,0,0,0:vw1); (3,0,0,1:vw1); (3,0,0,2:vw1); (3,0,0,3:vw1); (3,0,1,0:vw1); (3,0,1,1:vw1); (3,0,1,2:vw1); (3,0,1,3:vw1); (3,0,2,0:vw1); (3,0,2,1:vw1); (3,0,2,2:vw1); (3,0,2,3:vw1); (3,0,3,0:vw1); (3,0,3,1:vw1); (3,0,3,2:vw1); (3,0,3,3:vw1); (3,0,4,0:vw1); (3,0,4,1:vw1); (3,0,4,2:vw1); (3,0,4,3:vw1); (3,0,5,0:vw1); (3,0,5,1:vw1); (3,0,5,2:vw1); (3,0,5,3:vw1); (3,0,6,0:vw1); (3,0,6,1:vw1); (3,0,6,2:vw1); (3,0,6,3:vw1); (3,0,7,0:vw1); (3,0,7,1:vw1); (3,0,7,2:vw1); (3,0,7,3:vw1); (4,0,0,0:vw1); (4,0,0,1:vw1); (4,0,0,2:vw1); (4,0,0,3:vw1); (4,0,1,0:vw1); (4,0,1,1:vw1); (4,0,1,2:vw1); (4,0,1,3:vw1); (4,0,2,0:vw1); (4,0,2,1:vw1); (4,0,2,2:vw1); (4,0,2,3:vw1); (4,0,3,0:vw1); (4,0,3,1:vw1); (4,0,3,2:vw1); (4,0,3,3:vw1); (4,0,4,0:vw1); (4,0,4,1:vw1); (4,0,4,2:vw1); (4,0,4,3:vw1); (4,0,5,0:vw1); (4,0,5,1:vw1); (4,0,5,2:vw1); (4,0,5,3:vw1); (4,0,6,0:vw1); (4,0,6,1:vw1); (4,0,6,2:vw1); (4,0,6,3:vw1); (4,0,7,0:vw1); (4,0,7,1:vw1); (4,0,7,2:vw1); (4,0,7,3:vw1) */
/******************************************/

/* calc coords, apply mask, and issue loads (if necessary) */
/* (d1,vc1,d0,vc0)=(2,4,0,0) */
_v_add_co_u32 v1, vcc, v1, 1                       // coord1.1: coord1Vgpr += d1*sg1*VW + vc1

/* Fix for UseInitialStridesCD, emitAddressSetupCode */
_v_add_u32 v2, v2, s[sgprStrideC1J]                // ROWINC- Move cinRowPtr to next row
_v_add_u32 v3, v3, s[sgprStrideD1J]                // Move coutRowPtr to next row
v_cmp_lt_u32 s[52:53], v0, s[sgprSizeI]            // coord0 < size0
v_cmp_lt_u32 s[56:57], v1, s[sgprSizeJ]            // coord1 < size1
s_and_b64 s[56:57], s[52:53], s[56:57]             // in0 && in1
_v_add_lshl_u32 v10, v2, v0, 0x1                   // scaleToBpe: accumulate d0 lower and *= bpe into Cin addr
v_cndmask_b32 v10, -1, v10, s[56:57]               // LDC clip if OOB. offset
_buffer_load_d16_b16 v11, v10, s[sgprSrdC:sgprSrdC+3], 0, offen offset:0,  sc0 sc1 // load C for beta calc
_v_add_lshl_u32 v10, v3, v0, 0x1                   // scaleToBpe: accumulate d0 lower and *= bpe into Cin addr
v_cndmask_b32 v10, -1, v10, s[56:57]               // LDD clip if OOB. offset
/* (d1,vc1,d0,vc0)=(2,4,0,1) */
_v_add_co_u32 v4, vcc, v0, 1                       // coord0.1: coord0 += d0*sg0*VW + vc0
v_cmp_lt_u32 s[52:53], v4, s[sgprSizeI]            // coord0 < size0
v_cmp_lt_u32 s[56:57], v1, s[sgprSizeJ]            // coord1 < size1
s_and_b64 s[56:57], s[52:53], s[56:57]             // in0 && in1
_v_add_lshl_u32 v13, v2, v4, 0x1                   // scaleToBpe: accumulate d0 lower and *= bpe into Cin addr
v_cndmask_b32 v13, -1, v13, s[56:57]               // LDC clip if OOB. offset
_buffer_load_d16_b16 v14, v13, s[sgprSrdC:sgprSrdC+3], 0, offen offset:0,  sc0 sc1 // load C for beta calc
_v_add_lshl_u32 v13, v3, v4, 0x1                   // scaleToBpe: accumulate d0 lower and *= bpe into Cin addr
v_cndmask_b32 v13, -1, v13, s[56:57]               // LDD clip if OOB. offset
/* (d1,vc1,d0,vc0)=(2,4,0,2) */
_v_add_co_u32 v4, vcc, v0, 2                       // coord0.1: coord0 += d0*sg0*VW + vc0
v_cmp_lt_u32 s[52:53], v4, s[sgprSizeI]            // coord0 < size0
v_cmp_lt_u32 s[56:57], v1, s[sgprSizeJ]            // coord1 < size1
s_and_b64 s[56:57], s[52:53], s[56:57]             // in0 && in1
_v_add_lshl_u32 v16, v2, v4, 0x1                   // scaleToBpe: accumulate d0 lower and *= bpe into Cin addr
v_cndmask_b32 v16, -1, v16, s[56:57]               // LDC clip if OOB. offset
_buffer_load_d16_b16 v17, v16, s[sgprSrdC:sgprSrdC+3], 0, offen offset:0,  sc0 sc1 // load C for beta calc
_v_add_lshl_u32 v16, v3, v4, 0x1                   // scaleToBpe: accumulate d0 lower and *= bpe into Cin addr
v_cndmask_b32 v16, -1, v16, s[56:57]               // LDD clip if OOB. offset
/* (d1,vc1,d0,vc0)=(2,4,0,3) */
_v_add_co_u32 v4, vcc, v0, 3                       // coord0.1: coord0 += d0*sg0*VW + vc0
v_cmp_lt_u32 s[52:53], v4, s[sgprSizeI]            // coord0 < size0
v_cmp_lt_u32 s[56:57], v1, s[sgprSizeJ]            // coord1 < size1
s_and_b64 s[56:57], s[52:53], s[56:57]             // in0 && in1
_v_add_lshl_u32 v19, v2, v4, 0x1                   // scaleToBpe: accumulate d0 lower and *= bpe into Cin addr
v_cndmask_b32 v19, -1, v19, s[56:57]               // LDC clip if OOB. offset
_buffer_load_d16_b16 v20, v19, s[sgprSrdC:sgprSrdC+3], 0, offen offset:0,  sc0 sc1 // load C for beta calc
_v_add_lshl_u32 v19, v3, v4, 0x1                   // scaleToBpe: accumulate d0 lower and *= bpe into Cin addr
v_cndmask_b32 v19, -1, v19, s[56:57]               // LDD clip if OOB. offset
/* (d1,vc1,d0,vc0)=(2,5,0,0) */
_v_add_co_u32 v1, vcc, v1, 1                       // coord1.1: coord1Vgpr += d1*sg1*VW + vc1

/* Fix for UseInitialStridesCD, emitAddressSetupCode */
_v_add_u32 v2, v2, s[sgprStrideC1J]                // ROWINC- Move cinRowPtr to next row
_v_add_u32 v3, v3, s[sgprStrideD1J]                // Move coutRowPtr to next row
v_cmp_lt_u32 s[52:53], v0, s[sgprSizeI]            // coord0 < size0
v_cmp_lt_u32 s[56:57], v1, s[sgprSizeJ]            // coord1 < size1
s_and_b64 s[56:57], s[52:53], s[56:57]             // in0 && in1
_v_add_lshl_u32 v22, v2, v0, 0x1                   // scaleToBpe: accumulate d0 lower and *= bpe into Cin addr
v_cndmask_b32 v22, -1, v22, s[56:57]               // LDC clip if OOB. offset
_buffer_load_d16_b16 v23, v22, s[sgprSrdC:sgprSrdC+3], 0, offen offset:0,  sc0 sc1 // load C for beta calc
_v_add_lshl_u32 v22, v3, v0, 0x1                   // scaleToBpe: accumulate d0 lower and *= bpe into Cin addr
v_cndmask_b32 v22, -1, v22, s[56:57]               // LDD clip if OOB. offset
/* (d1,vc1,d0,vc0)=(2,5,0,1) */
_v_add_co_u32 v4, vcc, v0, 1                       // coord0.1: coord0 += d0*sg0*VW + vc0
v_cmp_lt_u32 s[52:53], v4, s[sgprSizeI]            // coord0 < size0
v_cmp_lt_u32 s[56:57], v1, s[sgprSizeJ]            // coord1 < size1
s_and_b64 s[56:57], s[52:53], s[56:57]             // in0 && in1
_v_add_lshl_u32 v25, v2, v4, 0x1                   // scaleToBpe: accumulate d0 lower and *= bpe into Cin addr
v_cndmask_b32 v25, -1, v25, s[56:57]               // LDC clip if OOB. offset
_buffer_load_d16_b16 v26, v25, s[sgprSrdC:sgprSrdC+3], 0, offen offset:0,  sc0 sc1 // load C for beta calc
_v_add_lshl_u32 v25, v3, v4, 0x1                   // scaleToBpe: accumulate d0 lower and *= bpe into Cin addr
v_cndmask_b32 v25, -1, v25, s[56:57]               // LDD clip if OOB. offset
/* (d1,vc1,d0,vc0)=(2,5,0,2) */
_v_add_co_u32 v4, vcc, v0, 2                       // coord0.1: coord0 += d0*sg0*VW + vc0
v_cmp_lt_u32 s[52:53], v4, s[sgprSizeI]            // coord0 < size0
v_cmp_lt_u32 s[56:57], v1, s[sgprSizeJ]            // coord1 < size1
s_and_b64 s[56:57], s[52:53], s[56:57]             // in0 && in1
_v_add_lshl_u32 v28, v2, v4, 0x1                   // scaleToBpe: accumulate d0 lower and *= bpe into Cin addr
v_cndmask_b32 v28, -1, v28, s[56:57]               // LDC clip if OOB. offset
_buffer_load_d16_b16 v29, v28, s[sgprSrdC:sgprSrdC+3], 0, offen offset:0,  sc0 sc1 // load C for beta calc
_v_add_lshl_u32 v28, v3, v4, 0x1                   // scaleToBpe: accumulate d0 lower and *= bpe into Cin addr
v_cndmask_b32 v28, -1, v28, s[56:57]               // LDD clip if OOB. offset
/* (d1,vc1,d0,vc0)=(2,5,0,3) */
_v_add_co_u32 v4, vcc, v0, 3                       // coord0.1: coord0 += d0*sg0*VW + vc0
v_cmp_lt_u32 s[52:53], v4, s[sgprSizeI]            // coord0 < size0
v_cmp_lt_u32 s[56:57], v1, s[sgprSizeJ]            // coord1 < size1
s_and_b64 s[56:57], s[52:53], s[56:57]             // in0 && in1
_v_add_lshl_u32 v31, v2, v4, 0x1                   // scaleToBpe: accumulate d0 lower and *= bpe into Cin addr
v_cndmask_b32 v31, -1, v31, s[56:57]               // LDC clip if OOB. offset
_buffer_load_d16_b16 v32, v31, s[sgprSrdC:sgprSrdC+3], 0, offen offset:0,  sc0 sc1 // load C for beta calc
_v_add_lshl_u32 v31, v3, v4, 0x1                   // scaleToBpe: accumulate d0 lower and *= bpe into Cin addr
v_cndmask_b32 v31, -1, v31, s[56:57]               // LDD clip if OOB. offset
	;; [unrolled: 44-line block ×4, first 2 shown]
/* (d1,vc1,d0,vc0)=(3,0,0,0) */
_v_add_co_u32 v1, vcc, v1, 25                      // coord1.1: coord1Vgpr += d1*sg1*VW + vc1

/* Fix for UseInitialStridesCD, emitAddressSetupCode */
s_mul_i32 s52, s[sgprStrideC1J], 25                // scale stride
_v_add_u32 v2, v2, s52                             // ROWINC- Move cinRowPtr to next row
s_mul_i32 s52, s[sgprStrideD1J], 25                // scale stride
_v_add_u32 v3, v3, s52                             // Move coutRowPtr to next row
v_cmp_lt_u32 s[52:53], v0, s[sgprSizeI]            // coord0 < size0
v_cmp_lt_u32 s[56:57], v1, s[sgprSizeJ]            // coord1 < size1
s_and_b64 s[56:57], s[52:53], s[56:57]             // in0 && in1
_v_add_lshl_u32 v58, v2, v0, 0x1                   // scaleToBpe: accumulate d0 lower and *= bpe into Cin addr
v_cndmask_b32 v58, -1, v58, s[56:57]               // LDC clip if OOB. offset
_buffer_load_d16_b16 v59, v58, s[sgprSrdC:sgprSrdC+3], 0, offen offset:0,  sc0 sc1 // load C for beta calc
_v_add_lshl_u32 v58, v3, v0, 0x1                   // scaleToBpe: accumulate d0 lower and *= bpe into Cin addr
v_cndmask_b32 v58, -1, v58, s[56:57]               // LDD clip if OOB. offset
/* (d1,vc1,d0,vc0)=(3,0,0,1) */
_v_add_co_u32 v4, vcc, v0, 1                       // coord0.1: coord0 += d0*sg0*VW + vc0
v_cmp_lt_u32 s[52:53], v4, s[sgprSizeI]            // coord0 < size0
v_cmp_lt_u32 s[56:57], v1, s[sgprSizeJ]            // coord1 < size1
s_and_b64 s[56:57], s[52:53], s[56:57]             // in0 && in1
_v_add_lshl_u32 v61, v2, v4, 0x1                   // scaleToBpe: accumulate d0 lower and *= bpe into Cin addr
v_cndmask_b32 v61, -1, v61, s[56:57]               // LDC clip if OOB. offset
_buffer_load_d16_b16 v62, v61, s[sgprSrdC:sgprSrdC+3], 0, offen offset:0,  sc0 sc1 // load C for beta calc
_v_add_lshl_u32 v61, v3, v4, 0x1                   // scaleToBpe: accumulate d0 lower and *= bpe into Cin addr
v_cndmask_b32 v61, -1, v61, s[56:57]               // LDD clip if OOB. offset
/* (d1,vc1,d0,vc0)=(3,0,0,2) */
_v_add_co_u32 v4, vcc, v0, 2                       // coord0.1: coord0 += d0*sg0*VW + vc0
v_cmp_lt_u32 s[52:53], v4, s[sgprSizeI]            // coord0 < size0
v_cmp_lt_u32 s[56:57], v1, s[sgprSizeJ]            // coord1 < size1
s_and_b64 s[56:57], s[52:53], s[56:57]             // in0 && in1
_v_add_lshl_u32 v64, v2, v4, 0x1                   // scaleToBpe: accumulate d0 lower and *= bpe into Cin addr
v_cndmask_b32 v64, -1, v64, s[56:57]               // LDC clip if OOB. offset
_buffer_load_d16_b16 v65, v64, s[sgprSrdC:sgprSrdC+3], 0, offen offset:0,  sc0 sc1 // load C for beta calc
_v_add_lshl_u32 v64, v3, v4, 0x1                   // scaleToBpe: accumulate d0 lower and *= bpe into Cin addr
v_cndmask_b32 v64, -1, v64, s[56:57]               // LDD clip if OOB. offset
/* (d1,vc1,d0,vc0)=(3,0,0,3) */
_v_add_co_u32 v4, vcc, v0, 3                       // coord0.1: coord0 += d0*sg0*VW + vc0
v_cmp_lt_u32 s[52:53], v4, s[sgprSizeI]            // coord0 < size0
v_cmp_lt_u32 s[56:57], v1, s[sgprSizeJ]            // coord1 < size1
s_and_b64 s[56:57], s[52:53], s[56:57]             // in0 && in1
_v_add_lshl_u32 v67, v2, v4, 0x1                   // scaleToBpe: accumulate d0 lower and *= bpe into Cin addr
v_cndmask_b32 v67, -1, v67, s[56:57]               // LDC clip if OOB. offset
_buffer_load_d16_b16 v68, v67, s[sgprSrdC:sgprSrdC+3], 0, offen offset:0,  sc0 sc1 // load C for beta calc
_v_add_lshl_u32 v67, v3, v4, 0x1                   // scaleToBpe: accumulate d0 lower and *= bpe into Cin addr
v_cndmask_b32 v67, -1, v67, s[56:57]               // LDD clip if OOB. offset
/* (d1,vc1,d0,vc0)=(3,1,0,0) */
_v_add_co_u32 v1, vcc, v1, 1                       // coord1.1: coord1Vgpr += d1*sg1*VW + vc1

/* Fix for UseInitialStridesCD, emitAddressSetupCode */
_v_add_u32 v2, v2, s[sgprStrideC1J]                // ROWINC- Move cinRowPtr to next row
_v_add_u32 v3, v3, s[sgprStrideD1J]                // Move coutRowPtr to next row
v_cmp_lt_u32 s[52:53], v0, s[sgprSizeI]            // coord0 < size0
v_cmp_lt_u32 s[56:57], v1, s[sgprSizeJ]            // coord1 < size1
s_and_b64 s[56:57], s[52:53], s[56:57]             // in0 && in1
_v_add_lshl_u32 v70, v2, v0, 0x1                   // scaleToBpe: accumulate d0 lower and *= bpe into Cin addr
v_cndmask_b32 v70, -1, v70, s[56:57]               // LDC clip if OOB. offset
_buffer_load_d16_b16 v71, v70, s[sgprSrdC:sgprSrdC+3], 0, offen offset:0,  sc0 sc1 // load C for beta calc
_v_add_lshl_u32 v70, v3, v0, 0x1                   // scaleToBpe: accumulate d0 lower and *= bpe into Cin addr
v_cndmask_b32 v70, -1, v70, s[56:57]               // LDD clip if OOB. offset
/* (d1,vc1,d0,vc0)=(3,1,0,1) */
_v_add_co_u32 v4, vcc, v0, 1                       // coord0.1: coord0 += d0*sg0*VW + vc0
v_cmp_lt_u32 s[52:53], v4, s[sgprSizeI]            // coord0 < size0
v_cmp_lt_u32 s[56:57], v1, s[sgprSizeJ]            // coord1 < size1
s_and_b64 s[56:57], s[52:53], s[56:57]             // in0 && in1
_v_add_lshl_u32 v73, v2, v4, 0x1                   // scaleToBpe: accumulate d0 lower and *= bpe into Cin addr
v_cndmask_b32 v73, -1, v73, s[56:57]               // LDC clip if OOB. offset
_buffer_load_d16_b16 v74, v73, s[sgprSrdC:sgprSrdC+3], 0, offen offset:0,  sc0 sc1 // load C for beta calc
_v_add_lshl_u32 v73, v3, v4, 0x1                   // scaleToBpe: accumulate d0 lower and *= bpe into Cin addr
v_cndmask_b32 v73, -1, v73, s[56:57]               // LDD clip if OOB. offset
/* (d1,vc1,d0,vc0)=(3,1,0,2) */
_v_add_co_u32 v4, vcc, v0, 2                       // coord0.1: coord0 += d0*sg0*VW + vc0
v_cmp_lt_u32 s[52:53], v4, s[sgprSizeI]            // coord0 < size0
v_cmp_lt_u32 s[56:57], v1, s[sgprSizeJ]            // coord1 < size1
s_and_b64 s[56:57], s[52:53], s[56:57]             // in0 && in1
_v_add_lshl_u32 v76, v2, v4, 0x1                   // scaleToBpe: accumulate d0 lower and *= bpe into Cin addr
v_cndmask_b32 v76, -1, v76, s[56:57]               // LDC clip if OOB. offset
_buffer_load_d16_b16 v77, v76, s[sgprSrdC:sgprSrdC+3], 0, offen offset:0,  sc0 sc1 // load C for beta calc
_v_add_lshl_u32 v76, v3, v4, 0x1                   // scaleToBpe: accumulate d0 lower and *= bpe into Cin addr
v_cndmask_b32 v76, -1, v76, s[56:57]               // LDD clip if OOB. offset
/* (d1,vc1,d0,vc0)=(3,1,0,3) */
_v_add_co_u32 v4, vcc, v0, 3                       // coord0.1: coord0 += d0*sg0*VW + vc0
v_cmp_lt_u32 s[52:53], v4, s[sgprSizeI]            // coord0 < size0
v_cmp_lt_u32 s[56:57], v1, s[sgprSizeJ]            // coord1 < size1
s_and_b64 s[56:57], s[52:53], s[56:57]             // in0 && in1
_v_add_lshl_u32 v79, v2, v4, 0x1                   // scaleToBpe: accumulate d0 lower and *= bpe into Cin addr
v_cndmask_b32 v79, -1, v79, s[56:57]               // LDC clip if OOB. offset
_buffer_load_d16_b16 v80, v79, s[sgprSrdC:sgprSrdC+3], 0, offen offset:0,  sc0 sc1 // load C for beta calc
_v_add_lshl_u32 v79, v3, v4, 0x1                   // scaleToBpe: accumulate d0 lower and *= bpe into Cin addr
v_cndmask_b32 v79, -1, v79, s[56:57]               // LDD clip if OOB. offset
/* (d1,vc1,d0,vc0)=(3,2,0,0) */
_v_add_co_u32 v1, vcc, v1, 1                       // coord1.1: coord1Vgpr += d1*sg1*VW + vc1

/* Fix for UseInitialStridesCD, emitAddressSetupCode */
_v_add_u32 v2, v2, s[sgprStrideC1J]                // ROWINC- Move cinRowPtr to next row
_v_add_u32 v3, v3, s[sgprStrideD1J]                // Move coutRowPtr to next row
	;; [unrolled: 44-line block ×3, first 2 shown]
v_cmp_lt_u32 s[52:53], v0, s[sgprSizeI]            // coord0 < size0
v_cmp_lt_u32 s[56:57], v1, s[sgprSizeJ]            // coord1 < size1
s_and_b64 s[56:57], s[52:53], s[56:57]             // in0 && in1
_v_add_lshl_u32 v94, v2, v0, 0x1                   // scaleToBpe: accumulate d0 lower and *= bpe into Cin addr
v_cndmask_b32 v94, -1, v94, s[56:57]               // LDC clip if OOB. offset
_buffer_load_d16_b16 v95, v94, s[sgprSrdC:sgprSrdC+3], 0, offen offset:0,  sc0 sc1 // load C for beta calc
_v_add_lshl_u32 v94, v3, v0, 0x1                   // scaleToBpe: accumulate d0 lower and *= bpe into Cin addr
v_cndmask_b32 v94, -1, v94, s[56:57]               // LDD clip if OOB. offset
/* (d1,vc1,d0,vc0)=(3,3,0,1) */
_v_add_co_u32 v4, vcc, v0, 1                       // coord0.1: coord0 += d0*sg0*VW + vc0
v_cmp_lt_u32 s[52:53], v4, s[sgprSizeI]            // coord0 < size0
v_cmp_lt_u32 s[56:57], v1, s[sgprSizeJ]            // coord1 < size1
s_and_b64 s[56:57], s[52:53], s[56:57]             // in0 && in1
_v_add_lshl_u32 v97, v2, v4, 0x1                   // scaleToBpe: accumulate d0 lower and *= bpe into Cin addr
v_cndmask_b32 v97, -1, v97, s[56:57]               // LDC clip if OOB. offset
_buffer_load_d16_b16 v98, v97, s[sgprSrdC:sgprSrdC+3], 0, offen offset:0,  sc0 sc1 // load C for beta calc
_v_add_lshl_u32 v97, v3, v4, 0x1                   // scaleToBpe: accumulate d0 lower and *= bpe into Cin addr
v_cndmask_b32 v97, -1, v97, s[56:57]               // LDD clip if OOB. offset
/* (d1,vc1,d0,vc0)=(3,3,0,2) */
_v_add_co_u32 v4, vcc, v0, 2                       // coord0.1: coord0 += d0*sg0*VW + vc0
v_cmp_lt_u32 s[52:53], v4, s[sgprSizeI]            // coord0 < size0
v_cmp_lt_u32 s[56:57], v1, s[sgprSizeJ]            // coord1 < size1
s_and_b64 s[56:57], s[52:53], s[56:57]             // in0 && in1
_v_add_lshl_u32 v100, v2, v4, 0x1                  // scaleToBpe: accumulate d0 lower and *= bpe into Cin addr
v_cndmask_b32 v100, -1, v100, s[56:57]             // LDC clip if OOB. offset
_buffer_load_d16_b16 v101, v100, s[sgprSrdC:sgprSrdC+3], 0, offen offset:0,  sc0 sc1 // load C for beta calc
_v_add_lshl_u32 v100, v3, v4, 0x1                  // scaleToBpe: accumulate d0 lower and *= bpe into Cin addr
v_cndmask_b32 v100, -1, v100, s[56:57]             // LDD clip if OOB. offset
/* (d1,vc1,d0,vc0)=(3,3,0,3) */
_v_add_co_u32 v4, vcc, v0, 3                       // coord0.1: coord0 += d0*sg0*VW + vc0
v_cmp_lt_u32 s[52:53], v4, s[sgprSizeI]            // coord0 < size0
v_cmp_lt_u32 s[56:57], v1, s[sgprSizeJ]            // coord1 < size1
s_and_b64 s[56:57], s[52:53], s[56:57]             // in0 && in1
_v_add_lshl_u32 v103, v2, v4, 0x1                  // scaleToBpe: accumulate d0 lower and *= bpe into Cin addr
v_cndmask_b32 v103, -1, v103, s[56:57]             // LDC clip if OOB. offset
_buffer_load_d16_b16 v104, v103, s[sgprSrdC:sgprSrdC+3], 0, offen offset:0,  sc0 sc1 // load C for beta calc
_v_add_lshl_u32 v103, v3, v4, 0x1                  // scaleToBpe: accumulate d0 lower and *= bpe into Cin addr
v_cndmask_b32 v103, -1, v103, s[56:57]             // LDD clip if OOB. offset
/* (d1,vc1,d0,vc0)=(3,4,0,0) */
_v_add_co_u32 v1, vcc, v1, 1                       // coord1.1: coord1Vgpr += d1*sg1*VW + vc1

/* Fix for UseInitialStridesCD, emitAddressSetupCode */
_v_add_u32 v2, v2, s[sgprStrideC1J]                // ROWINC- Move cinRowPtr to next row
_v_add_u32 v3, v3, s[sgprStrideD1J]                // Move coutRowPtr to next row
v_cmp_lt_u32 s[52:53], v0, s[sgprSizeI]            // coord0 < size0
v_cmp_lt_u32 s[56:57], v1, s[sgprSizeJ]            // coord1 < size1
s_and_b64 s[56:57], s[52:53], s[56:57]             // in0 && in1
_v_add_lshl_u32 v106, v2, v0, 0x1                  // scaleToBpe: accumulate d0 lower and *= bpe into Cin addr
v_cndmask_b32 v106, -1, v106, s[56:57]             // LDC clip if OOB. offset
_buffer_load_d16_b16 v107, v106, s[sgprSrdC:sgprSrdC+3], 0, offen offset:0,  sc0 sc1 // load C for beta calc
_v_add_lshl_u32 v106, v3, v0, 0x1                  // scaleToBpe: accumulate d0 lower and *= bpe into Cin addr
v_cndmask_b32 v106, -1, v106, s[56:57]             // LDD clip if OOB. offset
/* (d1,vc1,d0,vc0)=(3,4,0,1) */
_v_add_co_u32 v4, vcc, v0, 1                       // coord0.1: coord0 += d0*sg0*VW + vc0
v_cmp_lt_u32 s[52:53], v4, s[sgprSizeI]            // coord0 < size0
v_cmp_lt_u32 s[56:57], v1, s[sgprSizeJ]            // coord1 < size1
s_and_b64 s[56:57], s[52:53], s[56:57]             // in0 && in1
_v_add_lshl_u32 v109, v2, v4, 0x1                  // scaleToBpe: accumulate d0 lower and *= bpe into Cin addr
v_cndmask_b32 v109, -1, v109, s[56:57]             // LDC clip if OOB. offset
_buffer_load_d16_b16 v110, v109, s[sgprSrdC:sgprSrdC+3], 0, offen offset:0,  sc0 sc1 // load C for beta calc
_v_add_lshl_u32 v109, v3, v4, 0x1                  // scaleToBpe: accumulate d0 lower and *= bpe into Cin addr
v_cndmask_b32 v109, -1, v109, s[56:57]             // LDD clip if OOB. offset
/* (d1,vc1,d0,vc0)=(3,4,0,2) */
_v_add_co_u32 v4, vcc, v0, 2                       // coord0.1: coord0 += d0*sg0*VW + vc0
v_cmp_lt_u32 s[52:53], v4, s[sgprSizeI]            // coord0 < size0
v_cmp_lt_u32 s[56:57], v1, s[sgprSizeJ]            // coord1 < size1
s_and_b64 s[56:57], s[52:53], s[56:57]             // in0 && in1
_v_add_lshl_u32 v112, v2, v4, 0x1                  // scaleToBpe: accumulate d0 lower and *= bpe into Cin addr
v_cndmask_b32 v112, -1, v112, s[56:57]             // LDC clip if OOB. offset
_buffer_load_d16_b16 v113, v112, s[sgprSrdC:sgprSrdC+3], 0, offen offset:0,  sc0 sc1 // load C for beta calc
_v_add_lshl_u32 v112, v3, v4, 0x1                  // scaleToBpe: accumulate d0 lower and *= bpe into Cin addr
v_cndmask_b32 v112, -1, v112, s[56:57]             // LDD clip if OOB. offset
/* (d1,vc1,d0,vc0)=(3,4,0,3) */
_v_add_co_u32 v4, vcc, v0, 3                       // coord0.1: coord0 += d0*sg0*VW + vc0
v_cmp_lt_u32 s[52:53], v4, s[sgprSizeI]            // coord0 < size0
v_cmp_lt_u32 s[56:57], v1, s[sgprSizeJ]            // coord1 < size1
s_and_b64 s[56:57], s[52:53], s[56:57]             // in0 && in1
_v_add_lshl_u32 v115, v2, v4, 0x1                  // scaleToBpe: accumulate d0 lower and *= bpe into Cin addr
v_cndmask_b32 v115, -1, v115, s[56:57]             // LDC clip if OOB. offset
_buffer_load_d16_b16 v116, v115, s[sgprSrdC:sgprSrdC+3], 0, offen offset:0,  sc0 sc1 // load C for beta calc
_v_add_lshl_u32 v115, v3, v4, 0x1                  // scaleToBpe: accumulate d0 lower and *= bpe into Cin addr
v_cndmask_b32 v115, -1, v115, s[56:57]             // LDD clip if OOB. offset
/* (d1,vc1,d0,vc0)=(3,5,0,0) */
_v_add_co_u32 v1, vcc, v1, 1                       // coord1.1: coord1Vgpr += d1*sg1*VW + vc1

/* Fix for UseInitialStridesCD, emitAddressSetupCode */
_v_add_u32 v2, v2, s[sgprStrideC1J]                // ROWINC- Move cinRowPtr to next row
_v_add_u32 v3, v3, s[sgprStrideD1J]                // Move coutRowPtr to next row
v_cmp_lt_u32 s[52:53], v0, s[sgprSizeI]            // coord0 < size0
v_cmp_lt_u32 s[56:57], v1, s[sgprSizeJ]            // coord1 < size1
s_and_b64 s[56:57], s[52:53], s[56:57]             // in0 && in1
_v_add_lshl_u32 v118, v2, v0, 0x1                  // scaleToBpe: accumulate d0 lower and *= bpe into Cin addr
v_cndmask_b32 v118, -1, v118, s[56:57]             // LDC clip if OOB. offset
_buffer_load_d16_b16 v119, v118, s[sgprSrdC:sgprSrdC+3], 0, offen offset:0,  sc0 sc1 // load C for beta calc
_v_add_lshl_u32 v118, v3, v0, 0x1                  // scaleToBpe: accumulate d0 lower and *= bpe into Cin addr
v_cndmask_b32 v118, -1, v118, s[56:57]             // LDD clip if OOB. offset
/* (d1,vc1,d0,vc0)=(3,5,0,1) */
_v_add_co_u32 v4, vcc, v0, 1                       // coord0.1: coord0 += d0*sg0*VW + vc0
v_cmp_lt_u32 s[52:53], v4, s[sgprSizeI]            // coord0 < size0
v_cmp_lt_u32 s[56:57], v1, s[sgprSizeJ]            // coord1 < size1
s_and_b64 s[56:57], s[52:53], s[56:57]             // in0 && in1
_v_add_lshl_u32 v121, v2, v4, 0x1                  // scaleToBpe: accumulate d0 lower and *= bpe into Cin addr
v_cndmask_b32 v121, -1, v121, s[56:57]             // LDC clip if OOB. offset
_buffer_load_d16_b16 v122, v121, s[sgprSrdC:sgprSrdC+3], 0, offen offset:0,  sc0 sc1 // load C for beta calc
_v_add_lshl_u32 v121, v3, v4, 0x1                  // scaleToBpe: accumulate d0 lower and *= bpe into Cin addr
v_cndmask_b32 v121, -1, v121, s[56:57]             // LDD clip if OOB. offset
	;; [unrolled: 44-line block ×4, first 2 shown]
/* (d1,vc1,d0,vc0)=(3,7,0,2) */
_v_add_co_u32 v4, vcc, v0, 2                       // coord0.1: coord0 += d0*sg0*VW + vc0
v_cmp_lt_u32 s[52:53], v4, s[sgprSizeI]            // coord0 < size0
v_cmp_lt_u32 s[56:57], v1, s[sgprSizeJ]            // coord1 < size1
s_and_b64 s[56:57], s[52:53], s[56:57]             // in0 && in1
_v_add_lshl_u32 v148, v2, v4, 0x1                  // scaleToBpe: accumulate d0 lower and *= bpe into Cin addr
v_cndmask_b32 v148, -1, v148, s[56:57]             // LDC clip if OOB. offset
_buffer_load_d16_b16 v149, v148, s[sgprSrdC:sgprSrdC+3], 0, offen offset:0,  sc0 sc1 // load C for beta calc
_v_add_lshl_u32 v148, v3, v4, 0x1                  // scaleToBpe: accumulate d0 lower and *= bpe into Cin addr
v_cndmask_b32 v148, -1, v148, s[56:57]             // LDD clip if OOB. offset
/* (d1,vc1,d0,vc0)=(3,7,0,3) */
_v_add_co_u32 v4, vcc, v0, 3                       // coord0.1: coord0 += d0*sg0*VW + vc0
v_cmp_lt_u32 s[52:53], v4, s[sgprSizeI]            // coord0 < size0
v_cmp_lt_u32 s[56:57], v1, s[sgprSizeJ]            // coord1 < size1
s_and_b64 s[56:57], s[52:53], s[56:57]             // in0 && in1
_v_add_lshl_u32 v151, v2, v4, 0x1                  // scaleToBpe: accumulate d0 lower and *= bpe into Cin addr
v_cndmask_b32 v151, -1, v151, s[56:57]             // LDC clip if OOB. offset
_buffer_load_d16_b16 v152, v151, s[sgprSrdC:sgprSrdC+3], 0, offen offset:0,  sc0 sc1 // load C for beta calc
_v_add_lshl_u32 v151, v3, v4, 0x1                  // scaleToBpe: accumulate d0 lower and *= bpe into Cin addr
v_cndmask_b32 v151, -1, v151, s[56:57]             // LDD clip if OOB. offset
/* (d1,vc1,d0,vc0)=(4,0,0,0) */
_v_add_co_u32 v1, vcc, v1, 25                      // coord1.1: coord1Vgpr += d1*sg1*VW + vc1

/* Fix for UseInitialStridesCD, emitAddressSetupCode */
s_mul_i32 s52, s[sgprStrideC1J], 25                // scale stride
_v_add_u32 v2, v2, s52                             // ROWINC- Move cinRowPtr to next row
s_mul_i32 s52, s[sgprStrideD1J], 25                // scale stride
_v_add_u32 v3, v3, s52                             // Move coutRowPtr to next row
v_cmp_lt_u32 s[52:53], v0, s[sgprSizeI]            // coord0 < size0
v_cmp_lt_u32 s[56:57], v1, s[sgprSizeJ]            // coord1 < size1
s_and_b64 s[56:57], s[52:53], s[56:57]             // in0 && in1
_v_add_lshl_u32 v154, v2, v0, 0x1                  // scaleToBpe: accumulate d0 lower and *= bpe into Cin addr
v_cndmask_b32 v154, -1, v154, s[56:57]             // LDC clip if OOB. offset
_buffer_load_d16_b16 v155, v154, s[sgprSrdC:sgprSrdC+3], 0, offen offset:0,  sc0 sc1 // load C for beta calc
_v_add_lshl_u32 v154, v3, v0, 0x1                  // scaleToBpe: accumulate d0 lower and *= bpe into Cin addr
v_cndmask_b32 v154, -1, v154, s[56:57]             // LDD clip if OOB. offset
/* (d1,vc1,d0,vc0)=(4,0,0,1) */
_v_add_co_u32 v4, vcc, v0, 1                       // coord0.1: coord0 += d0*sg0*VW + vc0
v_cmp_lt_u32 s[52:53], v4, s[sgprSizeI]            // coord0 < size0
v_cmp_lt_u32 s[56:57], v1, s[sgprSizeJ]            // coord1 < size1
s_and_b64 s[56:57], s[52:53], s[56:57]             // in0 && in1
_v_add_lshl_u32 v157, v2, v4, 0x1                  // scaleToBpe: accumulate d0 lower and *= bpe into Cin addr
v_cndmask_b32 v157, -1, v157, s[56:57]             // LDC clip if OOB. offset
_buffer_load_d16_b16 v158, v157, s[sgprSrdC:sgprSrdC+3], 0, offen offset:0,  sc0 sc1 // load C for beta calc
_v_add_lshl_u32 v157, v3, v4, 0x1                  // scaleToBpe: accumulate d0 lower and *= bpe into Cin addr
v_cndmask_b32 v157, -1, v157, s[56:57]             // LDD clip if OOB. offset
/* (d1,vc1,d0,vc0)=(4,0,0,2) */
_v_add_co_u32 v4, vcc, v0, 2                       // coord0.1: coord0 += d0*sg0*VW + vc0
v_cmp_lt_u32 s[52:53], v4, s[sgprSizeI]            // coord0 < size0
v_cmp_lt_u32 s[56:57], v1, s[sgprSizeJ]            // coord1 < size1
s_and_b64 s[56:57], s[52:53], s[56:57]             // in0 && in1
_v_add_lshl_u32 v160, v2, v4, 0x1                  // scaleToBpe: accumulate d0 lower and *= bpe into Cin addr
v_cndmask_b32 v160, -1, v160, s[56:57]             // LDC clip if OOB. offset
_buffer_load_d16_b16 v161, v160, s[sgprSrdC:sgprSrdC+3], 0, offen offset:0,  sc0 sc1 // load C for beta calc
_v_add_lshl_u32 v160, v3, v4, 0x1                  // scaleToBpe: accumulate d0 lower and *= bpe into Cin addr
v_cndmask_b32 v160, -1, v160, s[56:57]             // LDD clip if OOB. offset
/* (d1,vc1,d0,vc0)=(4,0,0,3) */
_v_add_co_u32 v4, vcc, v0, 3                       // coord0.1: coord0 += d0*sg0*VW + vc0
v_cmp_lt_u32 s[52:53], v4, s[sgprSizeI]            // coord0 < size0
v_cmp_lt_u32 s[56:57], v1, s[sgprSizeJ]            // coord1 < size1
s_and_b64 s[56:57], s[52:53], s[56:57]             // in0 && in1
_v_add_lshl_u32 v163, v2, v4, 0x1                  // scaleToBpe: accumulate d0 lower and *= bpe into Cin addr
v_cndmask_b32 v163, -1, v163, s[56:57]             // LDC clip if OOB. offset
_buffer_load_d16_b16 v164, v163, s[sgprSrdC:sgprSrdC+3], 0, offen offset:0,  sc0 sc1 // load C for beta calc
_v_add_lshl_u32 v163, v3, v4, 0x1                  // scaleToBpe: accumulate d0 lower and *= bpe into Cin addr
v_cndmask_b32 v163, -1, v163, s[56:57]             // LDD clip if OOB. offset
/* (d1,vc1,d0,vc0)=(4,1,0,0) */
_v_add_co_u32 v1, vcc, v1, 1                       // coord1.1: coord1Vgpr += d1*sg1*VW + vc1

/* Fix for UseInitialStridesCD, emitAddressSetupCode */
_v_add_u32 v2, v2, s[sgprStrideC1J]                // ROWINC- Move cinRowPtr to next row
_v_add_u32 v3, v3, s[sgprStrideD1J]                // Move coutRowPtr to next row
v_cmp_lt_u32 s[52:53], v0, s[sgprSizeI]            // coord0 < size0
v_cmp_lt_u32 s[56:57], v1, s[sgprSizeJ]            // coord1 < size1
s_and_b64 s[56:57], s[52:53], s[56:57]             // in0 && in1
_v_add_lshl_u32 v166, v2, v0, 0x1                  // scaleToBpe: accumulate d0 lower and *= bpe into Cin addr
v_cndmask_b32 v166, -1, v166, s[56:57]             // LDC clip if OOB. offset
_buffer_load_d16_b16 v167, v166, s[sgprSrdC:sgprSrdC+3], 0, offen offset:0,  sc0 sc1 // load C for beta calc
_v_add_lshl_u32 v166, v3, v0, 0x1                  // scaleToBpe: accumulate d0 lower and *= bpe into Cin addr
v_cndmask_b32 v166, -1, v166, s[56:57]             // LDD clip if OOB. offset
/* (d1,vc1,d0,vc0)=(4,1,0,1) */
_v_add_co_u32 v4, vcc, v0, 1                       // coord0.1: coord0 += d0*sg0*VW + vc0
v_cmp_lt_u32 s[52:53], v4, s[sgprSizeI]            // coord0 < size0
v_cmp_lt_u32 s[56:57], v1, s[sgprSizeJ]            // coord1 < size1
s_and_b64 s[56:57], s[52:53], s[56:57]             // in0 && in1
_v_add_lshl_u32 v169, v2, v4, 0x1                  // scaleToBpe: accumulate d0 lower and *= bpe into Cin addr
v_cndmask_b32 v169, -1, v169, s[56:57]             // LDC clip if OOB. offset
_buffer_load_d16_b16 v170, v169, s[sgprSrdC:sgprSrdC+3], 0, offen offset:0,  sc0 sc1 // load C for beta calc
_v_add_lshl_u32 v169, v3, v4, 0x1                  // scaleToBpe: accumulate d0 lower and *= bpe into Cin addr
v_cndmask_b32 v169, -1, v169, s[56:57]             // LDD clip if OOB. offset
/* (d1,vc1,d0,vc0)=(4,1,0,2) */
_v_add_co_u32 v4, vcc, v0, 2                       // coord0.1: coord0 += d0*sg0*VW + vc0
v_cmp_lt_u32 s[52:53], v4, s[sgprSizeI]            // coord0 < size0
v_cmp_lt_u32 s[56:57], v1, s[sgprSizeJ]            // coord1 < size1
s_and_b64 s[56:57], s[52:53], s[56:57]             // in0 && in1
_v_add_lshl_u32 v172, v2, v4, 0x1                  // scaleToBpe: accumulate d0 lower and *= bpe into Cin addr
v_cndmask_b32 v172, -1, v172, s[56:57]             // LDC clip if OOB. offset
_buffer_load_d16_b16 v173, v172, s[sgprSrdC:sgprSrdC+3], 0, offen offset:0,  sc0 sc1 // load C for beta calc
_v_add_lshl_u32 v172, v3, v4, 0x1                  // scaleToBpe: accumulate d0 lower and *= bpe into Cin addr
v_cndmask_b32 v172, -1, v172, s[56:57]             // LDD clip if OOB. offset
/* (d1,vc1,d0,vc0)=(4,1,0,3) */
_v_add_co_u32 v4, vcc, v0, 3                       // coord0.1: coord0 += d0*sg0*VW + vc0
v_cmp_lt_u32 s[52:53], v4, s[sgprSizeI]            // coord0 < size0
v_cmp_lt_u32 s[56:57], v1, s[sgprSizeJ]            // coord1 < size1
s_and_b64 s[56:57], s[52:53], s[56:57]             // in0 && in1
_v_add_lshl_u32 v175, v2, v4, 0x1                  // scaleToBpe: accumulate d0 lower and *= bpe into Cin addr
v_cndmask_b32 v175, -1, v175, s[56:57]             // LDC clip if OOB. offset
_buffer_load_d16_b16 v176, v175, s[sgprSrdC:sgprSrdC+3], 0, offen offset:0,  sc0 sc1 // load C for beta calc
_v_add_lshl_u32 v175, v3, v4, 0x1                  // scaleToBpe: accumulate d0 lower and *= bpe into Cin addr
v_cndmask_b32 v175, -1, v175, s[56:57]             // LDD clip if OOB. offset
/* (d1,vc1,d0,vc0)=(4,2,0,0) */
_v_add_co_u32 v1, vcc, v1, 1                       // coord1.1: coord1Vgpr += d1*sg1*VW + vc1

/* Fix for UseInitialStridesCD, emitAddressSetupCode */
_v_add_u32 v2, v2, s[sgprStrideC1J]                // ROWINC- Move cinRowPtr to next row
_v_add_u32 v3, v3, s[sgprStrideD1J]                // Move coutRowPtr to next row
	;; [unrolled: 44-line block ×7, first 2 shown]
v_cmp_lt_u32 s[52:53], v0, s[sgprSizeI]            // coord0 < size0
v_cmp_lt_u32 s[56:57], v1, s[sgprSizeJ]            // coord1 < size1
s_and_b64 s[56:57], s[52:53], s[56:57]             // in0 && in1
_v_add_lshl_u32 v240, v2, v0, 0x1                  // scaleToBpe: accumulate d0 lower and *= bpe into Cin addr
v_cndmask_b32 v240, -1, v240, s[56:57]             // LDC clip if OOB. offset
_buffer_load_d16_b16 v241, v240, s[sgprSrdC:sgprSrdC+3], 0, offen offset:0,  sc0 sc1 // load C for beta calc
_v_add_lshl_u32 v240, v3, v0, 0x1                  // scaleToBpe: accumulate d0 lower and *= bpe into Cin addr
v_cndmask_b32 v240, -1, v240, s[56:57]             // LDD clip if OOB. offset
/* (d1,vc1,d0,vc0)=(4,7,0,1) */
_v_add_co_u32 v4, vcc, v0, 1                       // coord0.1: coord0 += d0*sg0*VW + vc0
v_cmp_lt_u32 s[52:53], v4, s[sgprSizeI]            // coord0 < size0
v_cmp_lt_u32 s[56:57], v1, s[sgprSizeJ]            // coord1 < size1
s_and_b64 s[56:57], s[52:53], s[56:57]             // in0 && in1
_v_add_lshl_u32 v243, v2, v4, 0x1                  // scaleToBpe: accumulate d0 lower and *= bpe into Cin addr
v_cndmask_b32 v243, -1, v243, s[56:57]             // LDC clip if OOB. offset
_buffer_load_d16_b16 v244, v243, s[sgprSrdC:sgprSrdC+3], 0, offen offset:0,  sc0 sc1 // load C for beta calc
_v_add_lshl_u32 v243, v3, v4, 0x1                  // scaleToBpe: accumulate d0 lower and *= bpe into Cin addr
v_cndmask_b32 v243, -1, v243, s[56:57]             // LDD clip if OOB. offset
/* (d1,vc1,d0,vc0)=(4,7,0,2) */
_v_add_co_u32 v4, vcc, v0, 2                       // coord0.1: coord0 += d0*sg0*VW + vc0
	;; [unrolled: 10-line block ×3, first 2 shown]
v_cmp_lt_u32 s[52:53], v4, s[sgprSizeI]            // coord0 < size0
v_cmp_lt_u32 s[56:57], v1, s[sgprSizeJ]            // coord1 < size1
s_and_b64 s[56:57], s[52:53], s[56:57]             // in0 && in1
_v_add_lshl_u32 v249, v2, v4, 0x1                  // scaleToBpe: accumulate d0 lower and *= bpe into Cin addr
v_cndmask_b32 v249, -1, v249, s[56:57]             // LDC clip if OOB. offset
_buffer_load_d16_b16 v250, v249, s[sgprSrdC:sgprSrdC+3], 0, offen offset:0,  sc0 sc1 // load C for beta calc
_v_add_lshl_u32 v249, v3, v4, 0x1                  // scaleToBpe: accumulate d0 lower and *= bpe into Cin addr
v_cndmask_b32 v249, -1, v249, s[56:57]             // LDD clip if OOB. offset
v_accvgpr_read_b32 v[vgprValuC+12], acc66 // copy acc to vreg[80]
v_accvgpr_read_b32 v[vgprValuC+15], acc70 // copy acc to vreg[81]
v_accvgpr_read_b32 v[vgprValuC+18], acc74 // copy acc to vreg[82]
v_accvgpr_read_b32 v[vgprValuC+21], acc78 // copy acc to vreg[83]
v_accvgpr_read_b32 v[vgprValuC+24], acc82 // copy acc to vreg[84]
v_accvgpr_read_b32 v[vgprValuC+27], acc86 // copy acc to vreg[85]
v_accvgpr_read_b32 v[vgprValuC+30], acc90 // copy acc to vreg[86]
v_accvgpr_read_b32 v[vgprValuC+33], acc94 // copy acc to vreg[87]
v_accvgpr_read_b32 v[vgprValuC+36], acc67 // copy acc to vreg[88]
v_accvgpr_read_b32 v[vgprValuC+39], acc71 // copy acc to vreg[89]
v_accvgpr_read_b32 v[vgprValuC+42], acc75 // copy acc to vreg[90]
v_accvgpr_read_b32 v[vgprValuC+45], acc79 // copy acc to vreg[91]
v_accvgpr_read_b32 v[vgprValuC+48], acc83 // copy acc to vreg[92]
v_accvgpr_read_b32 v[vgprValuC+51], acc87 // copy acc to vreg[93]
v_accvgpr_read_b32 v[vgprValuC+54], acc91 // copy acc to vreg[94]
v_accvgpr_read_b32 v[vgprValuC+57], acc95 // copy acc to vreg[95]
v_accvgpr_read_b32 v[vgprValuC+60], acc96 // copy acc to vreg[96]
v_accvgpr_read_b32 v[vgprValuC+63], acc100 // copy acc to vreg[97]
v_accvgpr_read_b32 v[vgprValuC+66], acc104 // copy acc to vreg[98]
v_accvgpr_read_b32 v[vgprValuC+69], acc108 // copy acc to vreg[99]
v_accvgpr_read_b32 v[vgprValuC+72], acc112 // copy acc to vreg[100]
v_accvgpr_read_b32 v[vgprValuC+75], acc116 // copy acc to vreg[101]
v_accvgpr_read_b32 v[vgprValuC+78], acc120 // copy acc to vreg[102]
v_accvgpr_read_b32 v[vgprValuC+81], acc124 // copy acc to vreg[103]
v_accvgpr_read_b32 v[vgprValuC+84], acc97 // copy acc to vreg[104]
v_accvgpr_read_b32 v[vgprValuC+87], acc101 // copy acc to vreg[105]
v_accvgpr_read_b32 v[vgprValuC+90], acc105 // copy acc to vreg[106]
v_accvgpr_read_b32 v[vgprValuC+93], acc109 // copy acc to vreg[107]
v_accvgpr_read_b32 v[vgprValuC+96], acc113 // copy acc to vreg[108]
v_accvgpr_read_b32 v[vgprValuC+99], acc117 // copy acc to vreg[109]
v_accvgpr_read_b32 v[vgprValuC+102], acc121 // copy acc to vreg[110]
v_accvgpr_read_b32 v[vgprValuC+105], acc125 // copy acc to vreg[111]
v_accvgpr_read_b32 v[vgprValuC+108], acc98 // copy acc to vreg[112]
v_accvgpr_read_b32 v[vgprValuC+111], acc102 // copy acc to vreg[113]
v_accvgpr_read_b32 v[vgprValuC+114], acc106 // copy acc to vreg[114]
v_accvgpr_read_b32 v[vgprValuC+117], acc110 // copy acc to vreg[115]
v_accvgpr_read_b32 v[vgprValuC+120], acc114 // copy acc to vreg[116]
v_accvgpr_read_b32 v[vgprValuC+123], acc118 // copy acc to vreg[117]
v_accvgpr_read_b32 v[vgprValuC+126], acc122 // copy acc to vreg[118]
v_accvgpr_read_b32 v[vgprValuC+129], acc126 // copy acc to vreg[119]
v_accvgpr_read_b32 v[vgprValuC+132], acc99 // copy acc to vreg[120]
v_accvgpr_read_b32 v[vgprValuC+135], acc103 // copy acc to vreg[121]
v_accvgpr_read_b32 v[vgprValuC+138], acc107 // copy acc to vreg[122]
v_accvgpr_read_b32 v[vgprValuC+141], acc111 // copy acc to vreg[123]
v_accvgpr_read_b32 v[vgprValuC+144], acc115 // copy acc to vreg[124]
v_accvgpr_read_b32 v[vgprValuC+147], acc119 // copy acc to vreg[125]
v_accvgpr_read_b32 v[vgprValuC+150], acc123 // copy acc to vreg[126]
v_accvgpr_read_b32 v[vgprValuC+153], acc127 // copy acc to vreg[127]
v_accvgpr_read_b32 v[vgprValuC+156], acc128 // copy acc to vreg[128]
v_accvgpr_read_b32 v[vgprValuC+159], acc132 // copy acc to vreg[129]
v_accvgpr_read_b32 v[vgprValuC+162], acc136 // copy acc to vreg[130]
v_accvgpr_read_b32 v[vgprValuC+165], acc140 // copy acc to vreg[131]
v_accvgpr_read_b32 v[vgprValuC+168], acc144 // copy acc to vreg[132]
v_accvgpr_read_b32 v[vgprValuC+171], acc148 // copy acc to vreg[133]
v_accvgpr_read_b32 v[vgprValuC+174], acc152 // copy acc to vreg[134]
v_accvgpr_read_b32 v[vgprValuC+177], acc156 // copy acc to vreg[135]
v_accvgpr_read_b32 v[vgprValuC+180], acc129 // copy acc to vreg[136]
v_accvgpr_read_b32 v[vgprValuC+183], acc133 // copy acc to vreg[137]
v_accvgpr_read_b32 v[vgprValuC+186], acc137 // copy acc to vreg[138]
v_accvgpr_read_b32 v[vgprValuC+189], acc141 // copy acc to vreg[139]
v_accvgpr_read_b32 v[vgprValuC+192], acc145 // copy acc to vreg[140]
v_accvgpr_read_b32 v[vgprValuC+195], acc149 // copy acc to vreg[141]
v_accvgpr_read_b32 v[vgprValuC+198], acc153 // copy acc to vreg[142]
v_accvgpr_read_b32 v[vgprValuC+201], acc157 // copy acc to vreg[143]
v_accvgpr_read_b32 v[vgprValuC+204], acc130 // copy acc to vreg[144]
v_accvgpr_read_b32 v[vgprValuC+207], acc134 // copy acc to vreg[145]
v_accvgpr_read_b32 v[vgprValuC+210], acc138 // copy acc to vreg[146]
v_accvgpr_read_b32 v[vgprValuC+213], acc142 // copy acc to vreg[147]
v_accvgpr_read_b32 v[vgprValuC+216], acc146 // copy acc to vreg[148]
v_accvgpr_read_b32 v[vgprValuC+221], acc150 // copy acc to vreg[149]
v_accvgpr_read_b32 v[vgprValuC+224], acc154 // copy acc to vreg[150]
v_accvgpr_read_b32 v[vgprValuC+227], acc158 // copy acc to vreg[151]
v_accvgpr_read_b32 v[vgprValuC+230], acc131 // copy acc to vreg[152]
v_accvgpr_read_b32 v[vgprValuC+233], acc135 // copy acc to vreg[153]
v_accvgpr_read_b32 v[vgprValuC+236], acc139 // copy acc to vreg[154]
v_accvgpr_read_b32 v[vgprValuC+239], acc143 // copy acc to vreg[155]
v_accvgpr_read_b32 v[vgprValuC+242], acc147 // copy acc to vreg[156]
v_accvgpr_read_b32 v[vgprValuC+245], acc151 // copy acc to vreg[157]
v_accvgpr_read_b32 v[vgprValuC+248], acc155 // copy acc to vreg[158]
v_accvgpr_read_b32 v[vgprValuC+251], acc159 // copy acc to vreg[159]
s_nop 1                                            // 2 wait states required before reading vgpr

/* rC *= alpha batchElements=[(2, 0, 4, 0), (2, 0, 4, 1), (2, 0, 4, 2), (2, 0, 4, 3), (2, 0, 5, 0), (2, 0, 5, 1), (2, 0, 5, 2), (2, 0, 5, 3), (2, 0, 6, 0), (2, 0, 6, 1), (2, 0, 6, 2), (2, 0, 6, 3), (2, 0, 7, 0), (2, 0, 7, 1), (2, 0, 7, 2), (2, 0, 7, 3), (3, 0, 0, 0), (3, 0, 0, 1), (3, 0, 0, 2), (3, 0, 0, 3), (3, 0, 1, 0), (3, 0, 1, 1), (3, 0, 1, 2), (3, 0, 1, 3), (3, 0, 2, 0), (3, 0, 2, 1), (3, 0, 2, 2), (3, 0, 2, 3), (3, 0, 3, 0), (3, 0, 3, 1), (3, 0, 3, 2), (3, 0, 3, 3), (3, 0, 4, 0), (3, 0, 4, 1), (3, 0, 4, 2), (3, 0, 4, 3), (3, 0, 5, 0), (3, 0, 5, 1), (3, 0, 5, 2), (3, 0, 5, 3), (3, 0, 6, 0), (3, 0, 6, 1), (3, 0, 6, 2), (3, 0, 6, 3), (3, 0, 7, 0), (3, 0, 7, 1), (3, 0, 7, 2), (3, 0, 7, 3), (4, 0, 0, 0), (4, 0, 0, 1), (4, 0, 0, 2), (4, 0, 0, 3), (4, 0, 1, 0), (4, 0, 1, 1), (4, 0, 1, 2), (4, 0, 1, 3), (4, 0, 2, 0), (4, 0, 2, 1), (4, 0, 2, 2), (4, 0, 2, 3), (4, 0, 3, 0), (4, 0, 3, 1), (4, 0, 3, 2), (4, 0, 3, 3), (4, 0, 4, 0), (4, 0, 4, 1), (4, 0, 4, 2), (4, 0, 4, 3), (4, 0, 5, 0), (4, 0, 5, 1), (4, 0, 5, 2), (4, 0, 5, 3), (4, 0, 6, 0), (4, 0, 6, 1), (4, 0, 6, 2), (4, 0, 6, 3), (4, 0, 7, 0), (4, 0, 7, 1), (4, 0, 7, 2), (4, 0, 7, 3)] */
v_mul_f32 v[vgprValuC+12], s[sgprAlpha], v[vgprValuC+12] // *= alpha
v_mul_f32 v[vgprValuC+15], s[sgprAlpha], v[vgprValuC+15] // *= alpha
	;; [unrolled: 1-line block ×80, first 2 shown]
s_waitcnt vmcnt(0)                                 // wait C

/* apply mask, calc new C and issue writes */
v_mov_b32 v7, 0xffff0000                           // mask for pack two bfloat16 element to 32bit
v_mov_b32 v8, 0x7fff0000                           // fp32 Nan
v_mov_b32 v9, 0x7fff                               // rounding bias for bfloat16
v_lshlrev_b32 v4, 16, v11                          // convert bf16 to fp32
_v_mac_f32 v[vgprValuC+12], v4, s[sgprBeta]        // finalSum = sum*alpha + C*beta
v_cmp_u_f32 s[52:53], v[vgprValuC+12], v[vgprValuC+12] // check Nan
v_bfe_u32 v6, v[vgprValuC+12], 16, 1               // Non-Nan case: store lsb of bf16
v_add3_u32 v6, v[vgprValuC+12], v6, v9             // Non-Nan case: add lsb and the increment for rounding
v_cndmask_b32 v[vgprValuC+12], v6, v8, s[52:53]    // 
v_lshrrev_b32 v[vgprValuC+12], 16, v[vgprValuC+12] // convert C to bf16
_buffer_store_b16 v12, v10, s[sgprSrdD:sgprSrdD+3], 0, offen, offset:0,  sc0 sc1 // store D
v_lshlrev_b32 v4, 16, v14                          // convert bf16 to fp32
_v_mac_f32 v[vgprValuC+15], v4, s[sgprBeta]        // finalSum = sum*alpha + C*beta
v_cmp_u_f32 s[52:53], v[vgprValuC+15], v[vgprValuC+15] // check Nan
v_bfe_u32 v6, v[vgprValuC+15], 16, 1               // Non-Nan case: store lsb of bf16
v_add3_u32 v6, v[vgprValuC+15], v6, v9             // Non-Nan case: add lsb and the increment for rounding
v_cndmask_b32 v[vgprValuC+15], v6, v8, s[52:53]    // 
v_lshrrev_b32 v[vgprValuC+15], 16, v[vgprValuC+15] // convert C to bf16
_buffer_store_b16 v15, v13, s[sgprSrdD:sgprSrdD+3], 0, offen, offset:0,  sc0 sc1 // store D
v_lshlrev_b32 v4, 16, v17                          // convert bf16 to fp32
_v_mac_f32 v[vgprValuC+18], v4, s[sgprBeta]        // finalSum = sum*alpha + C*beta
v_cmp_u_f32 s[52:53], v[vgprValuC+18], v[vgprValuC+18] // check Nan
v_bfe_u32 v6, v[vgprValuC+18], 16, 1               // Non-Nan case: store lsb of bf16
v_add3_u32 v6, v[vgprValuC+18], v6, v9             // Non-Nan case: add lsb and the increment for rounding
v_cndmask_b32 v[vgprValuC+18], v6, v8, s[52:53]    // 
v_lshrrev_b32 v[vgprValuC+18], 16, v[vgprValuC+18] // convert C to bf16
_buffer_store_b16 v18, v16, s[sgprSrdD:sgprSrdD+3], 0, offen, offset:0,  sc0 sc1 // store D
v_lshlrev_b32 v4, 16, v20                          // convert bf16 to fp32
_v_mac_f32 v[vgprValuC+21], v4, s[sgprBeta]        // finalSum = sum*alpha + C*beta
v_cmp_u_f32 s[52:53], v[vgprValuC+21], v[vgprValuC+21] // check Nan
v_bfe_u32 v6, v[vgprValuC+21], 16, 1               // Non-Nan case: store lsb of bf16
v_add3_u32 v6, v[vgprValuC+21], v6, v9             // Non-Nan case: add lsb and the increment for rounding
v_cndmask_b32 v[vgprValuC+21], v6, v8, s[52:53]    // 
v_lshrrev_b32 v[vgprValuC+21], 16, v[vgprValuC+21] // convert C to bf16
_buffer_store_b16 v21, v19, s[sgprSrdD:sgprSrdD+3], 0, offen, offset:0,  sc0 sc1 // store D
v_lshlrev_b32 v4, 16, v23                          // convert bf16 to fp32
_v_mac_f32 v[vgprValuC+24], v4, s[sgprBeta]        // finalSum = sum*alpha + C*beta
v_cmp_u_f32 s[52:53], v[vgprValuC+24], v[vgprValuC+24] // check Nan
v_bfe_u32 v6, v[vgprValuC+24], 16, 1               // Non-Nan case: store lsb of bf16
v_add3_u32 v6, v[vgprValuC+24], v6, v9             // Non-Nan case: add lsb and the increment for rounding
v_cndmask_b32 v[vgprValuC+24], v6, v8, s[52:53]    // 
v_lshrrev_b32 v[vgprValuC+24], 16, v[vgprValuC+24] // convert C to bf16
_buffer_store_b16 v24, v22, s[sgprSrdD:sgprSrdD+3], 0, offen, offset:0,  sc0 sc1 // store D
v_lshlrev_b32 v4, 16, v26                          // convert bf16 to fp32
_v_mac_f32 v[vgprValuC+27], v4, s[sgprBeta]        // finalSum = sum*alpha + C*beta
v_cmp_u_f32 s[52:53], v[vgprValuC+27], v[vgprValuC+27] // check Nan
v_bfe_u32 v6, v[vgprValuC+27], 16, 1               // Non-Nan case: store lsb of bf16
v_add3_u32 v6, v[vgprValuC+27], v6, v9             // Non-Nan case: add lsb and the increment for rounding
v_cndmask_b32 v[vgprValuC+27], v6, v8, s[52:53]    // 
v_lshrrev_b32 v[vgprValuC+27], 16, v[vgprValuC+27] // convert C to bf16
_buffer_store_b16 v27, v25, s[sgprSrdD:sgprSrdD+3], 0, offen, offset:0,  sc0 sc1 // store D
v_lshlrev_b32 v4, 16, v29                          // convert bf16 to fp32
_v_mac_f32 v[vgprValuC+30], v4, s[sgprBeta]        // finalSum = sum*alpha + C*beta
v_cmp_u_f32 s[52:53], v[vgprValuC+30], v[vgprValuC+30] // check Nan
v_bfe_u32 v6, v[vgprValuC+30], 16, 1               // Non-Nan case: store lsb of bf16
v_add3_u32 v6, v[vgprValuC+30], v6, v9             // Non-Nan case: add lsb and the increment for rounding
v_cndmask_b32 v[vgprValuC+30], v6, v8, s[52:53]    // 
v_lshrrev_b32 v[vgprValuC+30], 16, v[vgprValuC+30] // convert C to bf16
_buffer_store_b16 v30, v28, s[sgprSrdD:sgprSrdD+3], 0, offen, offset:0,  sc0 sc1 // store D
v_lshlrev_b32 v4, 16, v32                          // convert bf16 to fp32
_v_mac_f32 v[vgprValuC+33], v4, s[sgprBeta]        // finalSum = sum*alpha + C*beta
v_cmp_u_f32 s[52:53], v[vgprValuC+33], v[vgprValuC+33] // check Nan
v_bfe_u32 v6, v[vgprValuC+33], 16, 1               // Non-Nan case: store lsb of bf16
v_add3_u32 v6, v[vgprValuC+33], v6, v9             // Non-Nan case: add lsb and the increment for rounding
v_cndmask_b32 v[vgprValuC+33], v6, v8, s[52:53]    // 
v_lshrrev_b32 v[vgprValuC+33], 16, v[vgprValuC+33] // convert C to bf16
_buffer_store_b16 v33, v31, s[sgprSrdD:sgprSrdD+3], 0, offen, offset:0,  sc0 sc1 // store D
v_lshlrev_b32 v4, 16, v35                          // convert bf16 to fp32
_v_mac_f32 v[vgprValuC+36], v4, s[sgprBeta]        // finalSum = sum*alpha + C*beta
v_cmp_u_f32 s[52:53], v[vgprValuC+36], v[vgprValuC+36] // check Nan
v_bfe_u32 v6, v[vgprValuC+36], 16, 1               // Non-Nan case: store lsb of bf16
v_add3_u32 v6, v[vgprValuC+36], v6, v9             // Non-Nan case: add lsb and the increment for rounding
v_cndmask_b32 v[vgprValuC+36], v6, v8, s[52:53]    // 
v_lshrrev_b32 v[vgprValuC+36], 16, v[vgprValuC+36] // convert C to bf16
_buffer_store_b16 v36, v34, s[sgprSrdD:sgprSrdD+3], 0, offen, offset:0,  sc0 sc1 // store D
v_lshlrev_b32 v4, 16, v38                          // convert bf16 to fp32
_v_mac_f32 v[vgprValuC+39], v4, s[sgprBeta]        // finalSum = sum*alpha + C*beta
v_cmp_u_f32 s[52:53], v[vgprValuC+39], v[vgprValuC+39] // check Nan
v_bfe_u32 v6, v[vgprValuC+39], 16, 1               // Non-Nan case: store lsb of bf16
v_add3_u32 v6, v[vgprValuC+39], v6, v9             // Non-Nan case: add lsb and the increment for rounding
v_cndmask_b32 v[vgprValuC+39], v6, v8, s[52:53]    // 
v_lshrrev_b32 v[vgprValuC+39], 16, v[vgprValuC+39] // convert C to bf16
_buffer_store_b16 v39, v37, s[sgprSrdD:sgprSrdD+3], 0, offen, offset:0,  sc0 sc1 // store D
v_lshlrev_b32 v4, 16, v41                          // convert bf16 to fp32
_v_mac_f32 v[vgprValuC+42], v4, s[sgprBeta]        // finalSum = sum*alpha + C*beta
v_cmp_u_f32 s[52:53], v[vgprValuC+42], v[vgprValuC+42] // check Nan
v_bfe_u32 v6, v[vgprValuC+42], 16, 1               // Non-Nan case: store lsb of bf16
v_add3_u32 v6, v[vgprValuC+42], v6, v9             // Non-Nan case: add lsb and the increment for rounding
v_cndmask_b32 v[vgprValuC+42], v6, v8, s[52:53]    // 
v_lshrrev_b32 v[vgprValuC+42], 16, v[vgprValuC+42] // convert C to bf16
_buffer_store_b16 v42, v40, s[sgprSrdD:sgprSrdD+3], 0, offen, offset:0,  sc0 sc1 // store D
v_lshlrev_b32 v4, 16, v44                          // convert bf16 to fp32
_v_mac_f32 v[vgprValuC+45], v4, s[sgprBeta]        // finalSum = sum*alpha + C*beta
v_cmp_u_f32 s[52:53], v[vgprValuC+45], v[vgprValuC+45] // check Nan
v_bfe_u32 v6, v[vgprValuC+45], 16, 1               // Non-Nan case: store lsb of bf16
v_add3_u32 v6, v[vgprValuC+45], v6, v9             // Non-Nan case: add lsb and the increment for rounding
v_cndmask_b32 v[vgprValuC+45], v6, v8, s[52:53]    // 
v_lshrrev_b32 v[vgprValuC+45], 16, v[vgprValuC+45] // convert C to bf16
_buffer_store_b16 v45, v43, s[sgprSrdD:sgprSrdD+3], 0, offen, offset:0,  sc0 sc1 // store D
v_lshlrev_b32 v4, 16, v47                          // convert bf16 to fp32
_v_mac_f32 v[vgprValuC+48], v4, s[sgprBeta]        // finalSum = sum*alpha + C*beta
v_cmp_u_f32 s[52:53], v[vgprValuC+48], v[vgprValuC+48] // check Nan
v_bfe_u32 v6, v[vgprValuC+48], 16, 1               // Non-Nan case: store lsb of bf16
v_add3_u32 v6, v[vgprValuC+48], v6, v9             // Non-Nan case: add lsb and the increment for rounding
v_cndmask_b32 v[vgprValuC+48], v6, v8, s[52:53]    // 
v_lshrrev_b32 v[vgprValuC+48], 16, v[vgprValuC+48] // convert C to bf16
_buffer_store_b16 v48, v46, s[sgprSrdD:sgprSrdD+3], 0, offen, offset:0,  sc0 sc1 // store D
v_lshlrev_b32 v4, 16, v50                          // convert bf16 to fp32
_v_mac_f32 v[vgprValuC+51], v4, s[sgprBeta]        // finalSum = sum*alpha + C*beta
v_cmp_u_f32 s[52:53], v[vgprValuC+51], v[vgprValuC+51] // check Nan
v_bfe_u32 v6, v[vgprValuC+51], 16, 1               // Non-Nan case: store lsb of bf16
v_add3_u32 v6, v[vgprValuC+51], v6, v9             // Non-Nan case: add lsb and the increment for rounding
v_cndmask_b32 v[vgprValuC+51], v6, v8, s[52:53]    // 
v_lshrrev_b32 v[vgprValuC+51], 16, v[vgprValuC+51] // convert C to bf16
_buffer_store_b16 v51, v49, s[sgprSrdD:sgprSrdD+3], 0, offen, offset:0,  sc0 sc1 // store D
v_lshlrev_b32 v4, 16, v53                          // convert bf16 to fp32
_v_mac_f32 v[vgprValuC+54], v4, s[sgprBeta]        // finalSum = sum*alpha + C*beta
v_cmp_u_f32 s[52:53], v[vgprValuC+54], v[vgprValuC+54] // check Nan
v_bfe_u32 v6, v[vgprValuC+54], 16, 1               // Non-Nan case: store lsb of bf16
v_add3_u32 v6, v[vgprValuC+54], v6, v9             // Non-Nan case: add lsb and the increment for rounding
v_cndmask_b32 v[vgprValuC+54], v6, v8, s[52:53]    // 
v_lshrrev_b32 v[vgprValuC+54], 16, v[vgprValuC+54] // convert C to bf16
_buffer_store_b16 v54, v52, s[sgprSrdD:sgprSrdD+3], 0, offen, offset:0,  sc0 sc1 // store D
v_lshlrev_b32 v4, 16, v56                          // convert bf16 to fp32
_v_mac_f32 v[vgprValuC+57], v4, s[sgprBeta]        // finalSum = sum*alpha + C*beta
v_cmp_u_f32 s[52:53], v[vgprValuC+57], v[vgprValuC+57] // check Nan
v_bfe_u32 v6, v[vgprValuC+57], 16, 1               // Non-Nan case: store lsb of bf16
v_add3_u32 v6, v[vgprValuC+57], v6, v9             // Non-Nan case: add lsb and the increment for rounding
v_cndmask_b32 v[vgprValuC+57], v6, v8, s[52:53]    // 
v_lshrrev_b32 v[vgprValuC+57], 16, v[vgprValuC+57] // convert C to bf16
_buffer_store_b16 v57, v55, s[sgprSrdD:sgprSrdD+3], 0, offen, offset:0,  sc0 sc1 // store D
v_lshlrev_b32 v4, 16, v59                          // convert bf16 to fp32
_v_mac_f32 v[vgprValuC+60], v4, s[sgprBeta]        // finalSum = sum*alpha + C*beta
v_cmp_u_f32 s[52:53], v[vgprValuC+60], v[vgprValuC+60] // check Nan
v_bfe_u32 v6, v[vgprValuC+60], 16, 1               // Non-Nan case: store lsb of bf16
v_add3_u32 v6, v[vgprValuC+60], v6, v9             // Non-Nan case: add lsb and the increment for rounding
v_cndmask_b32 v[vgprValuC+60], v6, v8, s[52:53]    // 
v_lshrrev_b32 v[vgprValuC+60], 16, v[vgprValuC+60] // convert C to bf16
_buffer_store_b16 v60, v58, s[sgprSrdD:sgprSrdD+3], 0, offen, offset:0,  sc0 sc1 // store D
v_lshlrev_b32 v4, 16, v62                          // convert bf16 to fp32
_v_mac_f32 v[vgprValuC+63], v4, s[sgprBeta]        // finalSum = sum*alpha + C*beta
v_cmp_u_f32 s[52:53], v[vgprValuC+63], v[vgprValuC+63] // check Nan
v_bfe_u32 v6, v[vgprValuC+63], 16, 1               // Non-Nan case: store lsb of bf16
v_add3_u32 v6, v[vgprValuC+63], v6, v9             // Non-Nan case: add lsb and the increment for rounding
v_cndmask_b32 v[vgprValuC+63], v6, v8, s[52:53]    // 
v_lshrrev_b32 v[vgprValuC+63], 16, v[vgprValuC+63] // convert C to bf16
_buffer_store_b16 v63, v61, s[sgprSrdD:sgprSrdD+3], 0, offen, offset:0,  sc0 sc1 // store D
v_lshlrev_b32 v4, 16, v65                          // convert bf16 to fp32
_v_mac_f32 v[vgprValuC+66], v4, s[sgprBeta]        // finalSum = sum*alpha + C*beta
v_cmp_u_f32 s[52:53], v[vgprValuC+66], v[vgprValuC+66] // check Nan
v_bfe_u32 v6, v[vgprValuC+66], 16, 1               // Non-Nan case: store lsb of bf16
v_add3_u32 v6, v[vgprValuC+66], v6, v9             // Non-Nan case: add lsb and the increment for rounding
v_cndmask_b32 v[vgprValuC+66], v6, v8, s[52:53]    // 
v_lshrrev_b32 v[vgprValuC+66], 16, v[vgprValuC+66] // convert C to bf16
_buffer_store_b16 v66, v64, s[sgprSrdD:sgprSrdD+3], 0, offen, offset:0,  sc0 sc1 // store D
v_lshlrev_b32 v4, 16, v68                          // convert bf16 to fp32
_v_mac_f32 v[vgprValuC+69], v4, s[sgprBeta]        // finalSum = sum*alpha + C*beta
v_cmp_u_f32 s[52:53], v[vgprValuC+69], v[vgprValuC+69] // check Nan
v_bfe_u32 v6, v[vgprValuC+69], 16, 1               // Non-Nan case: store lsb of bf16
v_add3_u32 v6, v[vgprValuC+69], v6, v9             // Non-Nan case: add lsb and the increment for rounding
v_cndmask_b32 v[vgprValuC+69], v6, v8, s[52:53]    // 
v_lshrrev_b32 v[vgprValuC+69], 16, v[vgprValuC+69] // convert C to bf16
_buffer_store_b16 v69, v67, s[sgprSrdD:sgprSrdD+3], 0, offen, offset:0,  sc0 sc1 // store D
v_lshlrev_b32 v4, 16, v71                          // convert bf16 to fp32
_v_mac_f32 v[vgprValuC+72], v4, s[sgprBeta]        // finalSum = sum*alpha + C*beta
v_cmp_u_f32 s[52:53], v[vgprValuC+72], v[vgprValuC+72] // check Nan
v_bfe_u32 v6, v[vgprValuC+72], 16, 1               // Non-Nan case: store lsb of bf16
v_add3_u32 v6, v[vgprValuC+72], v6, v9             // Non-Nan case: add lsb and the increment for rounding
v_cndmask_b32 v[vgprValuC+72], v6, v8, s[52:53]    // 
v_lshrrev_b32 v[vgprValuC+72], 16, v[vgprValuC+72] // convert C to bf16
_buffer_store_b16 v72, v70, s[sgprSrdD:sgprSrdD+3], 0, offen, offset:0,  sc0 sc1 // store D
v_lshlrev_b32 v4, 16, v74                          // convert bf16 to fp32
_v_mac_f32 v[vgprValuC+75], v4, s[sgprBeta]        // finalSum = sum*alpha + C*beta
v_cmp_u_f32 s[52:53], v[vgprValuC+75], v[vgprValuC+75] // check Nan
v_bfe_u32 v6, v[vgprValuC+75], 16, 1               // Non-Nan case: store lsb of bf16
v_add3_u32 v6, v[vgprValuC+75], v6, v9             // Non-Nan case: add lsb and the increment for rounding
v_cndmask_b32 v[vgprValuC+75], v6, v8, s[52:53]    // 
v_lshrrev_b32 v[vgprValuC+75], 16, v[vgprValuC+75] // convert C to bf16
_buffer_store_b16 v75, v73, s[sgprSrdD:sgprSrdD+3], 0, offen, offset:0,  sc0 sc1 // store D
v_lshlrev_b32 v4, 16, v77                          // convert bf16 to fp32
_v_mac_f32 v[vgprValuC+78], v4, s[sgprBeta]        // finalSum = sum*alpha + C*beta
v_cmp_u_f32 s[52:53], v[vgprValuC+78], v[vgprValuC+78] // check Nan
v_bfe_u32 v6, v[vgprValuC+78], 16, 1               // Non-Nan case: store lsb of bf16
v_add3_u32 v6, v[vgprValuC+78], v6, v9             // Non-Nan case: add lsb and the increment for rounding
v_cndmask_b32 v[vgprValuC+78], v6, v8, s[52:53]    // 
v_lshrrev_b32 v[vgprValuC+78], 16, v[vgprValuC+78] // convert C to bf16
_buffer_store_b16 v78, v76, s[sgprSrdD:sgprSrdD+3], 0, offen, offset:0,  sc0 sc1 // store D
v_lshlrev_b32 v4, 16, v80                          // convert bf16 to fp32
_v_mac_f32 v[vgprValuC+81], v4, s[sgprBeta]        // finalSum = sum*alpha + C*beta
v_cmp_u_f32 s[52:53], v[vgprValuC+81], v[vgprValuC+81] // check Nan
v_bfe_u32 v6, v[vgprValuC+81], 16, 1               // Non-Nan case: store lsb of bf16
v_add3_u32 v6, v[vgprValuC+81], v6, v9             // Non-Nan case: add lsb and the increment for rounding
v_cndmask_b32 v[vgprValuC+81], v6, v8, s[52:53]    // 
v_lshrrev_b32 v[vgprValuC+81], 16, v[vgprValuC+81] // convert C to bf16
_buffer_store_b16 v81, v79, s[sgprSrdD:sgprSrdD+3], 0, offen, offset:0,  sc0 sc1 // store D
v_lshlrev_b32 v4, 16, v83                          // convert bf16 to fp32
_v_mac_f32 v[vgprValuC+84], v4, s[sgprBeta]        // finalSum = sum*alpha + C*beta
v_cmp_u_f32 s[52:53], v[vgprValuC+84], v[vgprValuC+84] // check Nan
v_bfe_u32 v6, v[vgprValuC+84], 16, 1               // Non-Nan case: store lsb of bf16
v_add3_u32 v6, v[vgprValuC+84], v6, v9             // Non-Nan case: add lsb and the increment for rounding
v_cndmask_b32 v[vgprValuC+84], v6, v8, s[52:53]    // 
v_lshrrev_b32 v[vgprValuC+84], 16, v[vgprValuC+84] // convert C to bf16
_buffer_store_b16 v84, v82, s[sgprSrdD:sgprSrdD+3], 0, offen, offset:0,  sc0 sc1 // store D
v_lshlrev_b32 v4, 16, v86                          // convert bf16 to fp32
_v_mac_f32 v[vgprValuC+87], v4, s[sgprBeta]        // finalSum = sum*alpha + C*beta
v_cmp_u_f32 s[52:53], v[vgprValuC+87], v[vgprValuC+87] // check Nan
v_bfe_u32 v6, v[vgprValuC+87], 16, 1               // Non-Nan case: store lsb of bf16
v_add3_u32 v6, v[vgprValuC+87], v6, v9             // Non-Nan case: add lsb and the increment for rounding
v_cndmask_b32 v[vgprValuC+87], v6, v8, s[52:53]    // 
v_lshrrev_b32 v[vgprValuC+87], 16, v[vgprValuC+87] // convert C to bf16
_buffer_store_b16 v87, v85, s[sgprSrdD:sgprSrdD+3], 0, offen, offset:0,  sc0 sc1 // store D
v_lshlrev_b32 v4, 16, v89                          // convert bf16 to fp32
_v_mac_f32 v[vgprValuC+90], v4, s[sgprBeta]        // finalSum = sum*alpha + C*beta
v_cmp_u_f32 s[52:53], v[vgprValuC+90], v[vgprValuC+90] // check Nan
v_bfe_u32 v6, v[vgprValuC+90], 16, 1               // Non-Nan case: store lsb of bf16
v_add3_u32 v6, v[vgprValuC+90], v6, v9             // Non-Nan case: add lsb and the increment for rounding
v_cndmask_b32 v[vgprValuC+90], v6, v8, s[52:53]    // 
v_lshrrev_b32 v[vgprValuC+90], 16, v[vgprValuC+90] // convert C to bf16
_buffer_store_b16 v90, v88, s[sgprSrdD:sgprSrdD+3], 0, offen, offset:0,  sc0 sc1 // store D
v_lshlrev_b32 v4, 16, v92                          // convert bf16 to fp32
_v_mac_f32 v[vgprValuC+93], v4, s[sgprBeta]        // finalSum = sum*alpha + C*beta
v_cmp_u_f32 s[52:53], v[vgprValuC+93], v[vgprValuC+93] // check Nan
v_bfe_u32 v6, v[vgprValuC+93], 16, 1               // Non-Nan case: store lsb of bf16
v_add3_u32 v6, v[vgprValuC+93], v6, v9             // Non-Nan case: add lsb and the increment for rounding
v_cndmask_b32 v[vgprValuC+93], v6, v8, s[52:53]    // 
v_lshrrev_b32 v[vgprValuC+93], 16, v[vgprValuC+93] // convert C to bf16
_buffer_store_b16 v93, v91, s[sgprSrdD:sgprSrdD+3], 0, offen, offset:0,  sc0 sc1 // store D
v_lshlrev_b32 v4, 16, v95                          // convert bf16 to fp32
_v_mac_f32 v[vgprValuC+96], v4, s[sgprBeta]        // finalSum = sum*alpha + C*beta
v_cmp_u_f32 s[52:53], v[vgprValuC+96], v[vgprValuC+96] // check Nan
v_bfe_u32 v6, v[vgprValuC+96], 16, 1               // Non-Nan case: store lsb of bf16
v_add3_u32 v6, v[vgprValuC+96], v6, v9             // Non-Nan case: add lsb and the increment for rounding
v_cndmask_b32 v[vgprValuC+96], v6, v8, s[52:53]    // 
v_lshrrev_b32 v[vgprValuC+96], 16, v[vgprValuC+96] // convert C to bf16
_buffer_store_b16 v96, v94, s[sgprSrdD:sgprSrdD+3], 0, offen, offset:0,  sc0 sc1 // store D
v_lshlrev_b32 v4, 16, v98                          // convert bf16 to fp32
_v_mac_f32 v[vgprValuC+99], v4, s[sgprBeta]        // finalSum = sum*alpha + C*beta
v_cmp_u_f32 s[52:53], v[vgprValuC+99], v[vgprValuC+99] // check Nan
v_bfe_u32 v6, v[vgprValuC+99], 16, 1               // Non-Nan case: store lsb of bf16
v_add3_u32 v6, v[vgprValuC+99], v6, v9             // Non-Nan case: add lsb and the increment for rounding
v_cndmask_b32 v[vgprValuC+99], v6, v8, s[52:53]    // 
v_lshrrev_b32 v[vgprValuC+99], 16, v[vgprValuC+99] // convert C to bf16
_buffer_store_b16 v99, v97, s[sgprSrdD:sgprSrdD+3], 0, offen, offset:0,  sc0 sc1 // store D
v_lshlrev_b32 v4, 16, v101                         // convert bf16 to fp32
_v_mac_f32 v[vgprValuC+102], v4, s[sgprBeta]       // finalSum = sum*alpha + C*beta
v_cmp_u_f32 s[52:53], v[vgprValuC+102], v[vgprValuC+102] // check Nan
v_bfe_u32 v6, v[vgprValuC+102], 16, 1              // Non-Nan case: store lsb of bf16
v_add3_u32 v6, v[vgprValuC+102], v6, v9            // Non-Nan case: add lsb and the increment for rounding
v_cndmask_b32 v[vgprValuC+102], v6, v8, s[52:53]   // 
v_lshrrev_b32 v[vgprValuC+102], 16, v[vgprValuC+102] // convert C to bf16
_buffer_store_b16 v102, v100, s[sgprSrdD:sgprSrdD+3], 0, offen, offset:0,  sc0 sc1 // store D
v_lshlrev_b32 v4, 16, v104                         // convert bf16 to fp32
_v_mac_f32 v[vgprValuC+105], v4, s[sgprBeta]       // finalSum = sum*alpha + C*beta
v_cmp_u_f32 s[52:53], v[vgprValuC+105], v[vgprValuC+105] // check Nan
v_bfe_u32 v6, v[vgprValuC+105], 16, 1              // Non-Nan case: store lsb of bf16
v_add3_u32 v6, v[vgprValuC+105], v6, v9            // Non-Nan case: add lsb and the increment for rounding
v_cndmask_b32 v[vgprValuC+105], v6, v8, s[52:53]   // 
v_lshrrev_b32 v[vgprValuC+105], 16, v[vgprValuC+105] // convert C to bf16
_buffer_store_b16 v105, v103, s[sgprSrdD:sgprSrdD+3], 0, offen, offset:0,  sc0 sc1 // store D
	;; [unrolled: 8-line block ×50, first 2 shown]
s_nop 0                                            // 1 wait state required when next inst writes vgprs held by previous dwordx4 store inst
/* optSingleColVgpr=0 optSharedColVgpr=0 optSGPRUsage=BufferLoad_Edge_Mask optSrdIncForRow=0 */

/******************************************/
/* Global Write Alpha Beta Edge Batch #2 (d1,d0,vc1,vc0) = */
/*    (5,0,0,0:vw1); (5,0,0,1:vw1); (5,0,0,2:vw1); (5,0,0,3:vw1); (5,0,1,0:vw1); (5,0,1,1:vw1); (5,0,1,2:vw1); (5,0,1,3:vw1); (5,0,2,0:vw1); (5,0,2,1:vw1); (5,0,2,2:vw1); (5,0,2,3:vw1); (5,0,3,0:vw1); (5,0,3,1:vw1); (5,0,3,2:vw1); (5,0,3,3:vw1); (5,0,4,0:vw1); (5,0,4,1:vw1); (5,0,4,2:vw1); (5,0,4,3:vw1); (5,0,5,0:vw1); (5,0,5,1:vw1); (5,0,5,2:vw1); (5,0,5,3:vw1); (5,0,6,0:vw1); (5,0,6,1:vw1); (5,0,6,2:vw1); (5,0,6,3:vw1); (5,0,7,0:vw1); (5,0,7,1:vw1); (5,0,7,2:vw1); (5,0,7,3:vw1); (6,0,0,0:vw1); (6,0,0,1:vw1); (6,0,0,2:vw1); (6,0,0,3:vw1); (6,0,1,0:vw1); (6,0,1,1:vw1); (6,0,1,2:vw1); (6,0,1,3:vw1); (6,0,2,0:vw1); (6,0,2,1:vw1); (6,0,2,2:vw1); (6,0,2,3:vw1); (6,0,3,0:vw1); (6,0,3,1:vw1); (6,0,3,2:vw1); (6,0,3,3:vw1); (6,0,4,0:vw1); (6,0,4,1:vw1); (6,0,4,2:vw1); (6,0,4,3:vw1); (6,0,5,0:vw1); (6,0,5,1:vw1); (6,0,5,2:vw1); (6,0,5,3:vw1); (6,0,6,0:vw1); (6,0,6,1:vw1); (6,0,6,2:vw1); (6,0,6,3:vw1); (6,0,7,0:vw1); (6,0,7,1:vw1); (6,0,7,2:vw1); (6,0,7,3:vw1); (7,0,0,0:vw1); (7,0,0,1:vw1); (7,0,0,2:vw1); (7,0,0,3:vw1); (7,0,1,0:vw1); (7,0,1,1:vw1); (7,0,1,2:vw1); (7,0,1,3:vw1); (7,0,2,0:vw1); (7,0,2,1:vw1); (7,0,2,2:vw1); (7,0,2,3:vw1); (7,0,3,0:vw1); (7,0,3,1:vw1); (7,0,3,2:vw1); (7,0,3,3:vw1) */
/******************************************/

/* calc coords, apply mask, and issue loads (if necessary) */
/* (d1,vc1,d0,vc0)=(5,0,0,0) */
_v_add_co_u32 v1, vcc, v1, 25                      // coord1.1: coord1Vgpr += d1*sg1*VW + vc1

/* Fix for UseInitialStridesCD, emitAddressSetupCode */
s_mul_i32 s52, s[sgprStrideC1J], 25                // scale stride
_v_add_u32 v2, v2, s52                             // ROWINC- Move cinRowPtr to next row
s_mul_i32 s52, s[sgprStrideD1J], 25                // scale stride
_v_add_u32 v3, v3, s52                             // Move coutRowPtr to next row
v_cmp_lt_u32 s[52:53], v0, s[sgprSizeI]            // coord0 < size0
v_cmp_lt_u32 s[56:57], v1, s[sgprSizeJ]            // coord1 < size1
s_and_b64 s[56:57], s[52:53], s[56:57]             // in0 && in1
_v_add_lshl_u32 v10, v2, v0, 0x1                   // scaleToBpe: accumulate d0 lower and *= bpe into Cin addr
v_cndmask_b32 v10, -1, v10, s[56:57]               // LDC clip if OOB. offset
_buffer_load_d16_b16 v11, v10, s[sgprSrdC:sgprSrdC+3], 0, offen offset:0,  sc0 sc1 // load C for beta calc
_v_add_lshl_u32 v10, v3, v0, 0x1                   // scaleToBpe: accumulate d0 lower and *= bpe into Cin addr
v_cndmask_b32 v10, -1, v10, s[56:57]               // LDD clip if OOB. offset
/* (d1,vc1,d0,vc0)=(5,0,0,1) */
_v_add_co_u32 v4, vcc, v0, 1                       // coord0.1: coord0 += d0*sg0*VW + vc0
v_cmp_lt_u32 s[52:53], v4, s[sgprSizeI]            // coord0 < size0
v_cmp_lt_u32 s[56:57], v1, s[sgprSizeJ]            // coord1 < size1
s_and_b64 s[56:57], s[52:53], s[56:57]             // in0 && in1
_v_add_lshl_u32 v13, v2, v4, 0x1                   // scaleToBpe: accumulate d0 lower and *= bpe into Cin addr
v_cndmask_b32 v13, -1, v13, s[56:57]               // LDC clip if OOB. offset
_buffer_load_d16_b16 v14, v13, s[sgprSrdC:sgprSrdC+3], 0, offen offset:0,  sc0 sc1 // load C for beta calc
_v_add_lshl_u32 v13, v3, v4, 0x1                   // scaleToBpe: accumulate d0 lower and *= bpe into Cin addr
v_cndmask_b32 v13, -1, v13, s[56:57]               // LDD clip if OOB. offset
/* (d1,vc1,d0,vc0)=(5,0,0,2) */
_v_add_co_u32 v4, vcc, v0, 2                       // coord0.1: coord0 += d0*sg0*VW + vc0
v_cmp_lt_u32 s[52:53], v4, s[sgprSizeI]            // coord0 < size0
v_cmp_lt_u32 s[56:57], v1, s[sgprSizeJ]            // coord1 < size1
s_and_b64 s[56:57], s[52:53], s[56:57]             // in0 && in1
_v_add_lshl_u32 v16, v2, v4, 0x1                   // scaleToBpe: accumulate d0 lower and *= bpe into Cin addr
v_cndmask_b32 v16, -1, v16, s[56:57]               // LDC clip if OOB. offset
_buffer_load_d16_b16 v17, v16, s[sgprSrdC:sgprSrdC+3], 0, offen offset:0,  sc0 sc1 // load C for beta calc
_v_add_lshl_u32 v16, v3, v4, 0x1                   // scaleToBpe: accumulate d0 lower and *= bpe into Cin addr
v_cndmask_b32 v16, -1, v16, s[56:57]               // LDD clip if OOB. offset
/* (d1,vc1,d0,vc0)=(5,0,0,3) */
_v_add_co_u32 v4, vcc, v0, 3                       // coord0.1: coord0 += d0*sg0*VW + vc0
v_cmp_lt_u32 s[52:53], v4, s[sgprSizeI]            // coord0 < size0
v_cmp_lt_u32 s[56:57], v1, s[sgprSizeJ]            // coord1 < size1
s_and_b64 s[56:57], s[52:53], s[56:57]             // in0 && in1
_v_add_lshl_u32 v19, v2, v4, 0x1                   // scaleToBpe: accumulate d0 lower and *= bpe into Cin addr
v_cndmask_b32 v19, -1, v19, s[56:57]               // LDC clip if OOB. offset
_buffer_load_d16_b16 v20, v19, s[sgprSrdC:sgprSrdC+3], 0, offen offset:0,  sc0 sc1 // load C for beta calc
_v_add_lshl_u32 v19, v3, v4, 0x1                   // scaleToBpe: accumulate d0 lower and *= bpe into Cin addr
v_cndmask_b32 v19, -1, v19, s[56:57]               // LDD clip if OOB. offset
/* (d1,vc1,d0,vc0)=(5,1,0,0) */
_v_add_co_u32 v1, vcc, v1, 1                       // coord1.1: coord1Vgpr += d1*sg1*VW + vc1

/* Fix for UseInitialStridesCD, emitAddressSetupCode */
_v_add_u32 v2, v2, s[sgprStrideC1J]                // ROWINC- Move cinRowPtr to next row
_v_add_u32 v3, v3, s[sgprStrideD1J]                // Move coutRowPtr to next row
v_cmp_lt_u32 s[52:53], v0, s[sgprSizeI]            // coord0 < size0
v_cmp_lt_u32 s[56:57], v1, s[sgprSizeJ]            // coord1 < size1
s_and_b64 s[56:57], s[52:53], s[56:57]             // in0 && in1
_v_add_lshl_u32 v22, v2, v0, 0x1                   // scaleToBpe: accumulate d0 lower and *= bpe into Cin addr
v_cndmask_b32 v22, -1, v22, s[56:57]               // LDC clip if OOB. offset
_buffer_load_d16_b16 v23, v22, s[sgprSrdC:sgprSrdC+3], 0, offen offset:0,  sc0 sc1 // load C for beta calc
_v_add_lshl_u32 v22, v3, v0, 0x1                   // scaleToBpe: accumulate d0 lower and *= bpe into Cin addr
v_cndmask_b32 v22, -1, v22, s[56:57]               // LDD clip if OOB. offset
/* (d1,vc1,d0,vc0)=(5,1,0,1) */
_v_add_co_u32 v4, vcc, v0, 1                       // coord0.1: coord0 += d0*sg0*VW + vc0
v_cmp_lt_u32 s[52:53], v4, s[sgprSizeI]            // coord0 < size0
v_cmp_lt_u32 s[56:57], v1, s[sgprSizeJ]            // coord1 < size1
s_and_b64 s[56:57], s[52:53], s[56:57]             // in0 && in1
_v_add_lshl_u32 v25, v2, v4, 0x1                   // scaleToBpe: accumulate d0 lower and *= bpe into Cin addr
v_cndmask_b32 v25, -1, v25, s[56:57]               // LDC clip if OOB. offset
_buffer_load_d16_b16 v26, v25, s[sgprSrdC:sgprSrdC+3], 0, offen offset:0,  sc0 sc1 // load C for beta calc
_v_add_lshl_u32 v25, v3, v4, 0x1                   // scaleToBpe: accumulate d0 lower and *= bpe into Cin addr
v_cndmask_b32 v25, -1, v25, s[56:57]               // LDD clip if OOB. offset
/* (d1,vc1,d0,vc0)=(5,1,0,2) */
_v_add_co_u32 v4, vcc, v0, 2                       // coord0.1: coord0 += d0*sg0*VW + vc0
v_cmp_lt_u32 s[52:53], v4, s[sgprSizeI]            // coord0 < size0
v_cmp_lt_u32 s[56:57], v1, s[sgprSizeJ]            // coord1 < size1
s_and_b64 s[56:57], s[52:53], s[56:57]             // in0 && in1
_v_add_lshl_u32 v28, v2, v4, 0x1                   // scaleToBpe: accumulate d0 lower and *= bpe into Cin addr
v_cndmask_b32 v28, -1, v28, s[56:57]               // LDC clip if OOB. offset
_buffer_load_d16_b16 v29, v28, s[sgprSrdC:sgprSrdC+3], 0, offen offset:0,  sc0 sc1 // load C for beta calc
_v_add_lshl_u32 v28, v3, v4, 0x1                   // scaleToBpe: accumulate d0 lower and *= bpe into Cin addr
v_cndmask_b32 v28, -1, v28, s[56:57]               // LDD clip if OOB. offset
/* (d1,vc1,d0,vc0)=(5,1,0,3) */
_v_add_co_u32 v4, vcc, v0, 3                       // coord0.1: coord0 += d0*sg0*VW + vc0
v_cmp_lt_u32 s[52:53], v4, s[sgprSizeI]            // coord0 < size0
v_cmp_lt_u32 s[56:57], v1, s[sgprSizeJ]            // coord1 < size1
s_and_b64 s[56:57], s[52:53], s[56:57]             // in0 && in1
_v_add_lshl_u32 v31, v2, v4, 0x1                   // scaleToBpe: accumulate d0 lower and *= bpe into Cin addr
v_cndmask_b32 v31, -1, v31, s[56:57]               // LDC clip if OOB. offset
_buffer_load_d16_b16 v32, v31, s[sgprSrdC:sgprSrdC+3], 0, offen offset:0,  sc0 sc1 // load C for beta calc
_v_add_lshl_u32 v31, v3, v4, 0x1                   // scaleToBpe: accumulate d0 lower and *= bpe into Cin addr
v_cndmask_b32 v31, -1, v31, s[56:57]               // LDD clip if OOB. offset
/* (d1,vc1,d0,vc0)=(5,2,0,0) */
_v_add_co_u32 v1, vcc, v1, 1                       // coord1.1: coord1Vgpr += d1*sg1*VW + vc1

/* Fix for UseInitialStridesCD, emitAddressSetupCode */
_v_add_u32 v2, v2, s[sgprStrideC1J]                // ROWINC- Move cinRowPtr to next row
_v_add_u32 v3, v3, s[sgprStrideD1J]                // Move coutRowPtr to next row
	;; [unrolled: 44-line block ×7, first 2 shown]
v_cmp_lt_u32 s[52:53], v0, s[sgprSizeI]            // coord0 < size0
v_cmp_lt_u32 s[56:57], v1, s[sgprSizeJ]            // coord1 < size1
s_and_b64 s[56:57], s[52:53], s[56:57]             // in0 && in1
_v_add_lshl_u32 v94, v2, v0, 0x1                   // scaleToBpe: accumulate d0 lower and *= bpe into Cin addr
v_cndmask_b32 v94, -1, v94, s[56:57]               // LDC clip if OOB. offset
_buffer_load_d16_b16 v95, v94, s[sgprSrdC:sgprSrdC+3], 0, offen offset:0,  sc0 sc1 // load C for beta calc
_v_add_lshl_u32 v94, v3, v0, 0x1                   // scaleToBpe: accumulate d0 lower and *= bpe into Cin addr
v_cndmask_b32 v94, -1, v94, s[56:57]               // LDD clip if OOB. offset
/* (d1,vc1,d0,vc0)=(5,7,0,1) */
_v_add_co_u32 v4, vcc, v0, 1                       // coord0.1: coord0 += d0*sg0*VW + vc0
v_cmp_lt_u32 s[52:53], v4, s[sgprSizeI]            // coord0 < size0
v_cmp_lt_u32 s[56:57], v1, s[sgprSizeJ]            // coord1 < size1
s_and_b64 s[56:57], s[52:53], s[56:57]             // in0 && in1
_v_add_lshl_u32 v97, v2, v4, 0x1                   // scaleToBpe: accumulate d0 lower and *= bpe into Cin addr
v_cndmask_b32 v97, -1, v97, s[56:57]               // LDC clip if OOB. offset
_buffer_load_d16_b16 v98, v97, s[sgprSrdC:sgprSrdC+3], 0, offen offset:0,  sc0 sc1 // load C for beta calc
_v_add_lshl_u32 v97, v3, v4, 0x1                   // scaleToBpe: accumulate d0 lower and *= bpe into Cin addr
v_cndmask_b32 v97, -1, v97, s[56:57]               // LDD clip if OOB. offset
/* (d1,vc1,d0,vc0)=(5,7,0,2) */
_v_add_co_u32 v4, vcc, v0, 2                       // coord0.1: coord0 += d0*sg0*VW + vc0
v_cmp_lt_u32 s[52:53], v4, s[sgprSizeI]            // coord0 < size0
v_cmp_lt_u32 s[56:57], v1, s[sgprSizeJ]            // coord1 < size1
s_and_b64 s[56:57], s[52:53], s[56:57]             // in0 && in1
_v_add_lshl_u32 v100, v2, v4, 0x1                  // scaleToBpe: accumulate d0 lower and *= bpe into Cin addr
v_cndmask_b32 v100, -1, v100, s[56:57]             // LDC clip if OOB. offset
_buffer_load_d16_b16 v101, v100, s[sgprSrdC:sgprSrdC+3], 0, offen offset:0,  sc0 sc1 // load C for beta calc
_v_add_lshl_u32 v100, v3, v4, 0x1                  // scaleToBpe: accumulate d0 lower and *= bpe into Cin addr
v_cndmask_b32 v100, -1, v100, s[56:57]             // LDD clip if OOB. offset
/* (d1,vc1,d0,vc0)=(5,7,0,3) */
_v_add_co_u32 v4, vcc, v0, 3                       // coord0.1: coord0 += d0*sg0*VW + vc0
v_cmp_lt_u32 s[52:53], v4, s[sgprSizeI]            // coord0 < size0
v_cmp_lt_u32 s[56:57], v1, s[sgprSizeJ]            // coord1 < size1
s_and_b64 s[56:57], s[52:53], s[56:57]             // in0 && in1
_v_add_lshl_u32 v103, v2, v4, 0x1                  // scaleToBpe: accumulate d0 lower and *= bpe into Cin addr
v_cndmask_b32 v103, -1, v103, s[56:57]             // LDC clip if OOB. offset
_buffer_load_d16_b16 v104, v103, s[sgprSrdC:sgprSrdC+3], 0, offen offset:0,  sc0 sc1 // load C for beta calc
_v_add_lshl_u32 v103, v3, v4, 0x1                  // scaleToBpe: accumulate d0 lower and *= bpe into Cin addr
v_cndmask_b32 v103, -1, v103, s[56:57]             // LDD clip if OOB. offset
/* (d1,vc1,d0,vc0)=(6,0,0,0) */
_v_add_co_u32 v1, vcc, v1, 25                      // coord1.1: coord1Vgpr += d1*sg1*VW + vc1

/* Fix for UseInitialStridesCD, emitAddressSetupCode */
s_mul_i32 s52, s[sgprStrideC1J], 25                // scale stride
_v_add_u32 v2, v2, s52                             // ROWINC- Move cinRowPtr to next row
s_mul_i32 s52, s[sgprStrideD1J], 25                // scale stride
_v_add_u32 v3, v3, s52                             // Move coutRowPtr to next row
v_cmp_lt_u32 s[52:53], v0, s[sgprSizeI]            // coord0 < size0
v_cmp_lt_u32 s[56:57], v1, s[sgprSizeJ]            // coord1 < size1
s_and_b64 s[56:57], s[52:53], s[56:57]             // in0 && in1
_v_add_lshl_u32 v106, v2, v0, 0x1                  // scaleToBpe: accumulate d0 lower and *= bpe into Cin addr
v_cndmask_b32 v106, -1, v106, s[56:57]             // LDC clip if OOB. offset
_buffer_load_d16_b16 v107, v106, s[sgprSrdC:sgprSrdC+3], 0, offen offset:0,  sc0 sc1 // load C for beta calc
_v_add_lshl_u32 v106, v3, v0, 0x1                  // scaleToBpe: accumulate d0 lower and *= bpe into Cin addr
v_cndmask_b32 v106, -1, v106, s[56:57]             // LDD clip if OOB. offset
/* (d1,vc1,d0,vc0)=(6,0,0,1) */
_v_add_co_u32 v4, vcc, v0, 1                       // coord0.1: coord0 += d0*sg0*VW + vc0
v_cmp_lt_u32 s[52:53], v4, s[sgprSizeI]            // coord0 < size0
v_cmp_lt_u32 s[56:57], v1, s[sgprSizeJ]            // coord1 < size1
s_and_b64 s[56:57], s[52:53], s[56:57]             // in0 && in1
_v_add_lshl_u32 v109, v2, v4, 0x1                  // scaleToBpe: accumulate d0 lower and *= bpe into Cin addr
v_cndmask_b32 v109, -1, v109, s[56:57]             // LDC clip if OOB. offset
_buffer_load_d16_b16 v110, v109, s[sgprSrdC:sgprSrdC+3], 0, offen offset:0,  sc0 sc1 // load C for beta calc
_v_add_lshl_u32 v109, v3, v4, 0x1                  // scaleToBpe: accumulate d0 lower and *= bpe into Cin addr
v_cndmask_b32 v109, -1, v109, s[56:57]             // LDD clip if OOB. offset
/* (d1,vc1,d0,vc0)=(6,0,0,2) */
_v_add_co_u32 v4, vcc, v0, 2                       // coord0.1: coord0 += d0*sg0*VW + vc0
v_cmp_lt_u32 s[52:53], v4, s[sgprSizeI]            // coord0 < size0
v_cmp_lt_u32 s[56:57], v1, s[sgprSizeJ]            // coord1 < size1
s_and_b64 s[56:57], s[52:53], s[56:57]             // in0 && in1
_v_add_lshl_u32 v112, v2, v4, 0x1                  // scaleToBpe: accumulate d0 lower and *= bpe into Cin addr
v_cndmask_b32 v112, -1, v112, s[56:57]             // LDC clip if OOB. offset
_buffer_load_d16_b16 v113, v112, s[sgprSrdC:sgprSrdC+3], 0, offen offset:0,  sc0 sc1 // load C for beta calc
_v_add_lshl_u32 v112, v3, v4, 0x1                  // scaleToBpe: accumulate d0 lower and *= bpe into Cin addr
v_cndmask_b32 v112, -1, v112, s[56:57]             // LDD clip if OOB. offset
/* (d1,vc1,d0,vc0)=(6,0,0,3) */
_v_add_co_u32 v4, vcc, v0, 3                       // coord0.1: coord0 += d0*sg0*VW + vc0
v_cmp_lt_u32 s[52:53], v4, s[sgprSizeI]            // coord0 < size0
v_cmp_lt_u32 s[56:57], v1, s[sgprSizeJ]            // coord1 < size1
s_and_b64 s[56:57], s[52:53], s[56:57]             // in0 && in1
_v_add_lshl_u32 v115, v2, v4, 0x1                  // scaleToBpe: accumulate d0 lower and *= bpe into Cin addr
v_cndmask_b32 v115, -1, v115, s[56:57]             // LDC clip if OOB. offset
_buffer_load_d16_b16 v116, v115, s[sgprSrdC:sgprSrdC+3], 0, offen offset:0,  sc0 sc1 // load C for beta calc
_v_add_lshl_u32 v115, v3, v4, 0x1                  // scaleToBpe: accumulate d0 lower and *= bpe into Cin addr
v_cndmask_b32 v115, -1, v115, s[56:57]             // LDD clip if OOB. offset
/* (d1,vc1,d0,vc0)=(6,1,0,0) */
_v_add_co_u32 v1, vcc, v1, 1                       // coord1.1: coord1Vgpr += d1*sg1*VW + vc1

/* Fix for UseInitialStridesCD, emitAddressSetupCode */
_v_add_u32 v2, v2, s[sgprStrideC1J]                // ROWINC- Move cinRowPtr to next row
_v_add_u32 v3, v3, s[sgprStrideD1J]                // Move coutRowPtr to next row
v_cmp_lt_u32 s[52:53], v0, s[sgprSizeI]            // coord0 < size0
v_cmp_lt_u32 s[56:57], v1, s[sgprSizeJ]            // coord1 < size1
s_and_b64 s[56:57], s[52:53], s[56:57]             // in0 && in1
_v_add_lshl_u32 v118, v2, v0, 0x1                  // scaleToBpe: accumulate d0 lower and *= bpe into Cin addr
v_cndmask_b32 v118, -1, v118, s[56:57]             // LDC clip if OOB. offset
_buffer_load_d16_b16 v119, v118, s[sgprSrdC:sgprSrdC+3], 0, offen offset:0,  sc0 sc1 // load C for beta calc
_v_add_lshl_u32 v118, v3, v0, 0x1                  // scaleToBpe: accumulate d0 lower and *= bpe into Cin addr
v_cndmask_b32 v118, -1, v118, s[56:57]             // LDD clip if OOB. offset
/* (d1,vc1,d0,vc0)=(6,1,0,1) */
_v_add_co_u32 v4, vcc, v0, 1                       // coord0.1: coord0 += d0*sg0*VW + vc0
v_cmp_lt_u32 s[52:53], v4, s[sgprSizeI]            // coord0 < size0
v_cmp_lt_u32 s[56:57], v1, s[sgprSizeJ]            // coord1 < size1
s_and_b64 s[56:57], s[52:53], s[56:57]             // in0 && in1
_v_add_lshl_u32 v121, v2, v4, 0x1                  // scaleToBpe: accumulate d0 lower and *= bpe into Cin addr
v_cndmask_b32 v121, -1, v121, s[56:57]             // LDC clip if OOB. offset
_buffer_load_d16_b16 v122, v121, s[sgprSrdC:sgprSrdC+3], 0, offen offset:0,  sc0 sc1 // load C for beta calc
_v_add_lshl_u32 v121, v3, v4, 0x1                  // scaleToBpe: accumulate d0 lower and *= bpe into Cin addr
v_cndmask_b32 v121, -1, v121, s[56:57]             // LDD clip if OOB. offset
/* (d1,vc1,d0,vc0)=(6,1,0,2) */
_v_add_co_u32 v4, vcc, v0, 2                       // coord0.1: coord0 += d0*sg0*VW + vc0
v_cmp_lt_u32 s[52:53], v4, s[sgprSizeI]            // coord0 < size0
v_cmp_lt_u32 s[56:57], v1, s[sgprSizeJ]            // coord1 < size1
s_and_b64 s[56:57], s[52:53], s[56:57]             // in0 && in1
_v_add_lshl_u32 v124, v2, v4, 0x1                  // scaleToBpe: accumulate d0 lower and *= bpe into Cin addr
v_cndmask_b32 v124, -1, v124, s[56:57]             // LDC clip if OOB. offset
_buffer_load_d16_b16 v125, v124, s[sgprSrdC:sgprSrdC+3], 0, offen offset:0,  sc0 sc1 // load C for beta calc
_v_add_lshl_u32 v124, v3, v4, 0x1                  // scaleToBpe: accumulate d0 lower and *= bpe into Cin addr
v_cndmask_b32 v124, -1, v124, s[56:57]             // LDD clip if OOB. offset
/* (d1,vc1,d0,vc0)=(6,1,0,3) */
_v_add_co_u32 v4, vcc, v0, 3                       // coord0.1: coord0 += d0*sg0*VW + vc0
v_cmp_lt_u32 s[52:53], v4, s[sgprSizeI]            // coord0 < size0
v_cmp_lt_u32 s[56:57], v1, s[sgprSizeJ]            // coord1 < size1
s_and_b64 s[56:57], s[52:53], s[56:57]             // in0 && in1
_v_add_lshl_u32 v127, v2, v4, 0x1                  // scaleToBpe: accumulate d0 lower and *= bpe into Cin addr
v_cndmask_b32 v127, -1, v127, s[56:57]             // LDC clip if OOB. offset
_buffer_load_d16_b16 v128, v127, s[sgprSrdC:sgprSrdC+3], 0, offen offset:0,  sc0 sc1 // load C for beta calc
_v_add_lshl_u32 v127, v3, v4, 0x1                  // scaleToBpe: accumulate d0 lower and *= bpe into Cin addr
v_cndmask_b32 v127, -1, v127, s[56:57]             // LDD clip if OOB. offset
/* (d1,vc1,d0,vc0)=(6,2,0,0) */
_v_add_co_u32 v1, vcc, v1, 1                       // coord1.1: coord1Vgpr += d1*sg1*VW + vc1

/* Fix for UseInitialStridesCD, emitAddressSetupCode */
_v_add_u32 v2, v2, s[sgprStrideC1J]                // ROWINC- Move cinRowPtr to next row
_v_add_u32 v3, v3, s[sgprStrideD1J]                // Move coutRowPtr to next row
	;; [unrolled: 44-line block ×7, first 2 shown]
v_cmp_lt_u32 s[52:53], v0, s[sgprSizeI]            // coord0 < size0
v_cmp_lt_u32 s[56:57], v1, s[sgprSizeJ]            // coord1 < size1
s_and_b64 s[56:57], s[52:53], s[56:57]             // in0 && in1
_v_add_lshl_u32 v190, v2, v0, 0x1                  // scaleToBpe: accumulate d0 lower and *= bpe into Cin addr
v_cndmask_b32 v190, -1, v190, s[56:57]             // LDC clip if OOB. offset
_buffer_load_d16_b16 v191, v190, s[sgprSrdC:sgprSrdC+3], 0, offen offset:0,  sc0 sc1 // load C for beta calc
_v_add_lshl_u32 v190, v3, v0, 0x1                  // scaleToBpe: accumulate d0 lower and *= bpe into Cin addr
v_cndmask_b32 v190, -1, v190, s[56:57]             // LDD clip if OOB. offset
/* (d1,vc1,d0,vc0)=(6,7,0,1) */
_v_add_co_u32 v4, vcc, v0, 1                       // coord0.1: coord0 += d0*sg0*VW + vc0
v_cmp_lt_u32 s[52:53], v4, s[sgprSizeI]            // coord0 < size0
v_cmp_lt_u32 s[56:57], v1, s[sgprSizeJ]            // coord1 < size1
s_and_b64 s[56:57], s[52:53], s[56:57]             // in0 && in1
_v_add_lshl_u32 v193, v2, v4, 0x1                  // scaleToBpe: accumulate d0 lower and *= bpe into Cin addr
v_cndmask_b32 v193, -1, v193, s[56:57]             // LDC clip if OOB. offset
_buffer_load_d16_b16 v194, v193, s[sgprSrdC:sgprSrdC+3], 0, offen offset:0,  sc0 sc1 // load C for beta calc
_v_add_lshl_u32 v193, v3, v4, 0x1                  // scaleToBpe: accumulate d0 lower and *= bpe into Cin addr
v_cndmask_b32 v193, -1, v193, s[56:57]             // LDD clip if OOB. offset
/* (d1,vc1,d0,vc0)=(6,7,0,2) */
_v_add_co_u32 v4, vcc, v0, 2                       // coord0.1: coord0 += d0*sg0*VW + vc0
	;; [unrolled: 10-line block ×3, first 2 shown]
v_cmp_lt_u32 s[52:53], v4, s[sgprSizeI]            // coord0 < size0
v_cmp_lt_u32 s[56:57], v1, s[sgprSizeJ]            // coord1 < size1
s_and_b64 s[56:57], s[52:53], s[56:57]             // in0 && in1
_v_add_lshl_u32 v199, v2, v4, 0x1                  // scaleToBpe: accumulate d0 lower and *= bpe into Cin addr
v_cndmask_b32 v199, -1, v199, s[56:57]             // LDC clip if OOB. offset
_buffer_load_d16_b16 v200, v199, s[sgprSrdC:sgprSrdC+3], 0, offen offset:0,  sc0 sc1 // load C for beta calc
_v_add_lshl_u32 v199, v3, v4, 0x1                  // scaleToBpe: accumulate d0 lower and *= bpe into Cin addr
v_cndmask_b32 v199, -1, v199, s[56:57]             // LDD clip if OOB. offset
/* (d1,vc1,d0,vc0)=(7,0,0,0) */
_v_add_co_u32 v1, vcc, v1, 25                      // coord1.1: coord1Vgpr += d1*sg1*VW + vc1

/* Fix for UseInitialStridesCD, emitAddressSetupCode */
s_mul_i32 s52, s[sgprStrideC1J], 25                // scale stride
_v_add_u32 v2, v2, s52                             // ROWINC- Move cinRowPtr to next row
s_mul_i32 s52, s[sgprStrideD1J], 25                // scale stride
_v_add_u32 v3, v3, s52                             // Move coutRowPtr to next row
v_cmp_lt_u32 s[52:53], v0, s[sgprSizeI]            // coord0 < size0
v_cmp_lt_u32 s[56:57], v1, s[sgprSizeJ]            // coord1 < size1
s_and_b64 s[56:57], s[52:53], s[56:57]             // in0 && in1
_v_add_lshl_u32 v202, v2, v0, 0x1                  // scaleToBpe: accumulate d0 lower and *= bpe into Cin addr
v_cndmask_b32 v202, -1, v202, s[56:57]             // LDC clip if OOB. offset
_buffer_load_d16_b16 v203, v202, s[sgprSrdC:sgprSrdC+3], 0, offen offset:0,  sc0 sc1 // load C for beta calc
_v_add_lshl_u32 v202, v3, v0, 0x1                  // scaleToBpe: accumulate d0 lower and *= bpe into Cin addr
v_cndmask_b32 v202, -1, v202, s[56:57]             // LDD clip if OOB. offset
/* (d1,vc1,d0,vc0)=(7,0,0,1) */
_v_add_co_u32 v4, vcc, v0, 1                       // coord0.1: coord0 += d0*sg0*VW + vc0
v_cmp_lt_u32 s[52:53], v4, s[sgprSizeI]            // coord0 < size0
v_cmp_lt_u32 s[56:57], v1, s[sgprSizeJ]            // coord1 < size1
s_and_b64 s[56:57], s[52:53], s[56:57]             // in0 && in1
_v_add_lshl_u32 v205, v2, v4, 0x1                  // scaleToBpe: accumulate d0 lower and *= bpe into Cin addr
v_cndmask_b32 v205, -1, v205, s[56:57]             // LDC clip if OOB. offset
_buffer_load_d16_b16 v206, v205, s[sgprSrdC:sgprSrdC+3], 0, offen offset:0,  sc0 sc1 // load C for beta calc
_v_add_lshl_u32 v205, v3, v4, 0x1                  // scaleToBpe: accumulate d0 lower and *= bpe into Cin addr
v_cndmask_b32 v205, -1, v205, s[56:57]             // LDD clip if OOB. offset
/* (d1,vc1,d0,vc0)=(7,0,0,2) */
_v_add_co_u32 v4, vcc, v0, 2                       // coord0.1: coord0 += d0*sg0*VW + vc0
v_cmp_lt_u32 s[52:53], v4, s[sgprSizeI]            // coord0 < size0
v_cmp_lt_u32 s[56:57], v1, s[sgprSizeJ]            // coord1 < size1
s_and_b64 s[56:57], s[52:53], s[56:57]             // in0 && in1
_v_add_lshl_u32 v208, v2, v4, 0x1                  // scaleToBpe: accumulate d0 lower and *= bpe into Cin addr
v_cndmask_b32 v208, -1, v208, s[56:57]             // LDC clip if OOB. offset
_buffer_load_d16_b16 v209, v208, s[sgprSrdC:sgprSrdC+3], 0, offen offset:0,  sc0 sc1 // load C for beta calc
_v_add_lshl_u32 v208, v3, v4, 0x1                  // scaleToBpe: accumulate d0 lower and *= bpe into Cin addr
v_cndmask_b32 v208, -1, v208, s[56:57]             // LDD clip if OOB. offset
/* (d1,vc1,d0,vc0)=(7,0,0,3) */
_v_add_co_u32 v4, vcc, v0, 3                       // coord0.1: coord0 += d0*sg0*VW + vc0
v_cmp_lt_u32 s[52:53], v4, s[sgprSizeI]            // coord0 < size0
v_cmp_lt_u32 s[56:57], v1, s[sgprSizeJ]            // coord1 < size1
s_and_b64 s[56:57], s[52:53], s[56:57]             // in0 && in1
_v_add_lshl_u32 v211, v2, v4, 0x1                  // scaleToBpe: accumulate d0 lower and *= bpe into Cin addr
v_cndmask_b32 v211, -1, v211, s[56:57]             // LDC clip if OOB. offset
_buffer_load_d16_b16 v212, v211, s[sgprSrdC:sgprSrdC+3], 0, offen offset:0,  sc0 sc1 // load C for beta calc
_v_add_lshl_u32 v211, v3, v4, 0x1                  // scaleToBpe: accumulate d0 lower and *= bpe into Cin addr
v_cndmask_b32 v211, -1, v211, s[56:57]             // LDD clip if OOB. offset
/* (d1,vc1,d0,vc0)=(7,1,0,0) */
_v_add_co_u32 v1, vcc, v1, 1                       // coord1.1: coord1Vgpr += d1*sg1*VW + vc1

/* Fix for UseInitialStridesCD, emitAddressSetupCode */
_v_add_u32 v2, v2, s[sgprStrideC1J]                // ROWINC- Move cinRowPtr to next row
_v_add_u32 v3, v3, s[sgprStrideD1J]                // Move coutRowPtr to next row
v_cmp_lt_u32 s[52:53], v0, s[sgprSizeI]            // coord0 < size0
v_cmp_lt_u32 s[56:57], v1, s[sgprSizeJ]            // coord1 < size1
s_and_b64 s[56:57], s[52:53], s[56:57]             // in0 && in1
_v_add_lshl_u32 v214, v2, v0, 0x1                  // scaleToBpe: accumulate d0 lower and *= bpe into Cin addr
v_cndmask_b32 v214, -1, v214, s[56:57]             // LDC clip if OOB. offset
_buffer_load_d16_b16 v215, v214, s[sgprSrdC:sgprSrdC+3], 0, offen offset:0,  sc0 sc1 // load C for beta calc
_v_add_lshl_u32 v214, v3, v0, 0x1                  // scaleToBpe: accumulate d0 lower and *= bpe into Cin addr
v_cndmask_b32 v214, -1, v214, s[56:57]             // LDD clip if OOB. offset
/* (d1,vc1,d0,vc0)=(7,1,0,1) */
_v_add_co_u32 v4, vcc, v0, 1                       // coord0.1: coord0 += d0*sg0*VW + vc0
v_cmp_lt_u32 s[52:53], v4, s[sgprSizeI]            // coord0 < size0
v_cmp_lt_u32 s[56:57], v1, s[sgprSizeJ]            // coord1 < size1
s_and_b64 s[56:57], s[52:53], s[56:57]             // in0 && in1
_v_add_lshl_u32 v217, v2, v4, 0x1                  // scaleToBpe: accumulate d0 lower and *= bpe into Cin addr
v_cndmask_b32 v217, -1, v217, s[56:57]             // LDC clip if OOB. offset
_buffer_load_d16_b16 v220, v217, s[sgprSrdC:sgprSrdC+3], 0, offen offset:0,  sc0 sc1 // load C for beta calc
_v_add_lshl_u32 v217, v3, v4, 0x1                  // scaleToBpe: accumulate d0 lower and *= bpe into Cin addr
v_cndmask_b32 v217, -1, v217, s[56:57]             // LDD clip if OOB. offset
/* (d1,vc1,d0,vc0)=(7,1,0,2) */
_v_add_co_u32 v4, vcc, v0, 2                       // coord0.1: coord0 += d0*sg0*VW + vc0
v_cmp_lt_u32 s[52:53], v4, s[sgprSizeI]            // coord0 < size0
v_cmp_lt_u32 s[56:57], v1, s[sgprSizeJ]            // coord1 < size1
s_and_b64 s[56:57], s[52:53], s[56:57]             // in0 && in1
_v_add_lshl_u32 v222, v2, v4, 0x1                  // scaleToBpe: accumulate d0 lower and *= bpe into Cin addr
v_cndmask_b32 v222, -1, v222, s[56:57]             // LDC clip if OOB. offset
_buffer_load_d16_b16 v223, v222, s[sgprSrdC:sgprSrdC+3], 0, offen offset:0,  sc0 sc1 // load C for beta calc
_v_add_lshl_u32 v222, v3, v4, 0x1                  // scaleToBpe: accumulate d0 lower and *= bpe into Cin addr
v_cndmask_b32 v222, -1, v222, s[56:57]             // LDD clip if OOB. offset
/* (d1,vc1,d0,vc0)=(7,1,0,3) */
_v_add_co_u32 v4, vcc, v0, 3                       // coord0.1: coord0 += d0*sg0*VW + vc0
v_cmp_lt_u32 s[52:53], v4, s[sgprSizeI]            // coord0 < size0
v_cmp_lt_u32 s[56:57], v1, s[sgprSizeJ]            // coord1 < size1
s_and_b64 s[56:57], s[52:53], s[56:57]             // in0 && in1
_v_add_lshl_u32 v225, v2, v4, 0x1                  // scaleToBpe: accumulate d0 lower and *= bpe into Cin addr
v_cndmask_b32 v225, -1, v225, s[56:57]             // LDC clip if OOB. offset
_buffer_load_d16_b16 v226, v225, s[sgprSrdC:sgprSrdC+3], 0, offen offset:0,  sc0 sc1 // load C for beta calc
_v_add_lshl_u32 v225, v3, v4, 0x1                  // scaleToBpe: accumulate d0 lower and *= bpe into Cin addr
v_cndmask_b32 v225, -1, v225, s[56:57]             // LDD clip if OOB. offset
/* (d1,vc1,d0,vc0)=(7,2,0,0) */
_v_add_co_u32 v1, vcc, v1, 1                       // coord1.1: coord1Vgpr += d1*sg1*VW + vc1

/* Fix for UseInitialStridesCD, emitAddressSetupCode */
_v_add_u32 v2, v2, s[sgprStrideC1J]                // ROWINC- Move cinRowPtr to next row
_v_add_u32 v3, v3, s[sgprStrideD1J]                // Move coutRowPtr to next row
	;; [unrolled: 44-line block ×3, first 2 shown]
v_cmp_lt_u32 s[52:53], v0, s[sgprSizeI]            // coord0 < size0
v_cmp_lt_u32 s[56:57], v1, s[sgprSizeJ]            // coord1 < size1
s_and_b64 s[56:57], s[52:53], s[56:57]             // in0 && in1
_v_add_lshl_u32 v240, v2, v0, 0x1                  // scaleToBpe: accumulate d0 lower and *= bpe into Cin addr
v_cndmask_b32 v240, -1, v240, s[56:57]             // LDC clip if OOB. offset
_buffer_load_d16_b16 v241, v240, s[sgprSrdC:sgprSrdC+3], 0, offen offset:0,  sc0 sc1 // load C for beta calc
_v_add_lshl_u32 v240, v3, v0, 0x1                  // scaleToBpe: accumulate d0 lower and *= bpe into Cin addr
v_cndmask_b32 v240, -1, v240, s[56:57]             // LDD clip if OOB. offset
/* (d1,vc1,d0,vc0)=(7,3,0,1) */
_v_add_co_u32 v4, vcc, v0, 1                       // coord0.1: coord0 += d0*sg0*VW + vc0
v_cmp_lt_u32 s[52:53], v4, s[sgprSizeI]            // coord0 < size0
v_cmp_lt_u32 s[56:57], v1, s[sgprSizeJ]            // coord1 < size1
s_and_b64 s[56:57], s[52:53], s[56:57]             // in0 && in1
_v_add_lshl_u32 v243, v2, v4, 0x1                  // scaleToBpe: accumulate d0 lower and *= bpe into Cin addr
v_cndmask_b32 v243, -1, v243, s[56:57]             // LDC clip if OOB. offset
_buffer_load_d16_b16 v244, v243, s[sgprSrdC:sgprSrdC+3], 0, offen offset:0,  sc0 sc1 // load C for beta calc
_v_add_lshl_u32 v243, v3, v4, 0x1                  // scaleToBpe: accumulate d0 lower and *= bpe into Cin addr
v_cndmask_b32 v243, -1, v243, s[56:57]             // LDD clip if OOB. offset
/* (d1,vc1,d0,vc0)=(7,3,0,2) */
_v_add_co_u32 v4, vcc, v0, 2                       // coord0.1: coord0 += d0*sg0*VW + vc0
	;; [unrolled: 10-line block ×3, first 2 shown]
v_cmp_lt_u32 s[52:53], v4, s[sgprSizeI]            // coord0 < size0
v_cmp_lt_u32 s[56:57], v1, s[sgprSizeJ]            // coord1 < size1
s_and_b64 s[56:57], s[52:53], s[56:57]             // in0 && in1
_v_add_lshl_u32 v249, v2, v4, 0x1                  // scaleToBpe: accumulate d0 lower and *= bpe into Cin addr
v_cndmask_b32 v249, -1, v249, s[56:57]             // LDC clip if OOB. offset
_buffer_load_d16_b16 v250, v249, s[sgprSrdC:sgprSrdC+3], 0, offen offset:0,  sc0 sc1 // load C for beta calc
_v_add_lshl_u32 v249, v3, v4, 0x1                  // scaleToBpe: accumulate d0 lower and *= bpe into Cin addr
v_cndmask_b32 v249, -1, v249, s[56:57]             // LDD clip if OOB. offset
v_accvgpr_read_b32 v[vgprValuC+12], acc160 // copy acc to vreg[160]
v_accvgpr_read_b32 v[vgprValuC+15], acc164 // copy acc to vreg[161]
v_accvgpr_read_b32 v[vgprValuC+18], acc168 // copy acc to vreg[162]
v_accvgpr_read_b32 v[vgprValuC+21], acc172 // copy acc to vreg[163]
v_accvgpr_read_b32 v[vgprValuC+24], acc176 // copy acc to vreg[164]
v_accvgpr_read_b32 v[vgprValuC+27], acc180 // copy acc to vreg[165]
v_accvgpr_read_b32 v[vgprValuC+30], acc184 // copy acc to vreg[166]
v_accvgpr_read_b32 v[vgprValuC+33], acc188 // copy acc to vreg[167]
v_accvgpr_read_b32 v[vgprValuC+36], acc161 // copy acc to vreg[168]
v_accvgpr_read_b32 v[vgprValuC+39], acc165 // copy acc to vreg[169]
v_accvgpr_read_b32 v[vgprValuC+42], acc169 // copy acc to vreg[170]
v_accvgpr_read_b32 v[vgprValuC+45], acc173 // copy acc to vreg[171]
v_accvgpr_read_b32 v[vgprValuC+48], acc177 // copy acc to vreg[172]
v_accvgpr_read_b32 v[vgprValuC+51], acc181 // copy acc to vreg[173]
v_accvgpr_read_b32 v[vgprValuC+54], acc185 // copy acc to vreg[174]
v_accvgpr_read_b32 v[vgprValuC+57], acc189 // copy acc to vreg[175]
v_accvgpr_read_b32 v[vgprValuC+60], acc162 // copy acc to vreg[176]
v_accvgpr_read_b32 v[vgprValuC+63], acc166 // copy acc to vreg[177]
v_accvgpr_read_b32 v[vgprValuC+66], acc170 // copy acc to vreg[178]
v_accvgpr_read_b32 v[vgprValuC+69], acc174 // copy acc to vreg[179]
v_accvgpr_read_b32 v[vgprValuC+72], acc178 // copy acc to vreg[180]
v_accvgpr_read_b32 v[vgprValuC+75], acc182 // copy acc to vreg[181]
v_accvgpr_read_b32 v[vgprValuC+78], acc186 // copy acc to vreg[182]
v_accvgpr_read_b32 v[vgprValuC+81], acc190 // copy acc to vreg[183]
v_accvgpr_read_b32 v[vgprValuC+84], acc163 // copy acc to vreg[184]
v_accvgpr_read_b32 v[vgprValuC+87], acc167 // copy acc to vreg[185]
v_accvgpr_read_b32 v[vgprValuC+90], acc171 // copy acc to vreg[186]
v_accvgpr_read_b32 v[vgprValuC+93], acc175 // copy acc to vreg[187]
v_accvgpr_read_b32 v[vgprValuC+96], acc179 // copy acc to vreg[188]
v_accvgpr_read_b32 v[vgprValuC+99], acc183 // copy acc to vreg[189]
v_accvgpr_read_b32 v[vgprValuC+102], acc187 // copy acc to vreg[190]
v_accvgpr_read_b32 v[vgprValuC+105], acc191 // copy acc to vreg[191]
v_accvgpr_read_b32 v[vgprValuC+108], acc192 // copy acc to vreg[192]
v_accvgpr_read_b32 v[vgprValuC+111], acc196 // copy acc to vreg[193]
v_accvgpr_read_b32 v[vgprValuC+114], acc200 // copy acc to vreg[194]
v_accvgpr_read_b32 v[vgprValuC+117], acc204 // copy acc to vreg[195]
v_accvgpr_read_b32 v[vgprValuC+120], acc208 // copy acc to vreg[196]
v_accvgpr_read_b32 v[vgprValuC+123], acc212 // copy acc to vreg[197]
v_accvgpr_read_b32 v[vgprValuC+126], acc216 // copy acc to vreg[198]
v_accvgpr_read_b32 v[vgprValuC+129], acc220 // copy acc to vreg[199]
v_accvgpr_read_b32 v[vgprValuC+132], acc193 // copy acc to vreg[200]
v_accvgpr_read_b32 v[vgprValuC+135], acc197 // copy acc to vreg[201]
v_accvgpr_read_b32 v[vgprValuC+138], acc201 // copy acc to vreg[202]
v_accvgpr_read_b32 v[vgprValuC+141], acc205 // copy acc to vreg[203]
v_accvgpr_read_b32 v[vgprValuC+144], acc209 // copy acc to vreg[204]
v_accvgpr_read_b32 v[vgprValuC+147], acc213 // copy acc to vreg[205]
v_accvgpr_read_b32 v[vgprValuC+150], acc217 // copy acc to vreg[206]
v_accvgpr_read_b32 v[vgprValuC+153], acc221 // copy acc to vreg[207]
v_accvgpr_read_b32 v[vgprValuC+156], acc194 // copy acc to vreg[208]
v_accvgpr_read_b32 v[vgprValuC+159], acc198 // copy acc to vreg[209]
v_accvgpr_read_b32 v[vgprValuC+162], acc202 // copy acc to vreg[210]
v_accvgpr_read_b32 v[vgprValuC+165], acc206 // copy acc to vreg[211]
v_accvgpr_read_b32 v[vgprValuC+168], acc210 // copy acc to vreg[212]
v_accvgpr_read_b32 v[vgprValuC+171], acc214 // copy acc to vreg[213]
v_accvgpr_read_b32 v[vgprValuC+174], acc218 // copy acc to vreg[214]
v_accvgpr_read_b32 v[vgprValuC+177], acc222 // copy acc to vreg[215]
v_accvgpr_read_b32 v[vgprValuC+180], acc195 // copy acc to vreg[216]
v_accvgpr_read_b32 v[vgprValuC+183], acc199 // copy acc to vreg[217]
v_accvgpr_read_b32 v[vgprValuC+186], acc203 // copy acc to vreg[218]
v_accvgpr_read_b32 v[vgprValuC+189], acc207 // copy acc to vreg[219]
v_accvgpr_read_b32 v[vgprValuC+192], acc211 // copy acc to vreg[220]
v_accvgpr_read_b32 v[vgprValuC+195], acc215 // copy acc to vreg[221]
v_accvgpr_read_b32 v[vgprValuC+198], acc219 // copy acc to vreg[222]
v_accvgpr_read_b32 v[vgprValuC+201], acc223 // copy acc to vreg[223]
v_accvgpr_read_b32 v[vgprValuC+204], acc224 // copy acc to vreg[224]
v_accvgpr_read_b32 v[vgprValuC+207], acc228 // copy acc to vreg[225]
v_accvgpr_read_b32 v[vgprValuC+210], acc232 // copy acc to vreg[226]
v_accvgpr_read_b32 v[vgprValuC+213], acc236 // copy acc to vreg[227]
v_accvgpr_read_b32 v[vgprValuC+216], acc240 // copy acc to vreg[228]
v_accvgpr_read_b32 v[vgprValuC+221], acc244 // copy acc to vreg[229]
v_accvgpr_read_b32 v[vgprValuC+224], acc248 // copy acc to vreg[230]
v_accvgpr_read_b32 v[vgprValuC+227], acc252 // copy acc to vreg[231]
v_accvgpr_read_b32 v[vgprValuC+230], acc225 // copy acc to vreg[232]
v_accvgpr_read_b32 v[vgprValuC+233], acc229 // copy acc to vreg[233]
v_accvgpr_read_b32 v[vgprValuC+236], acc233 // copy acc to vreg[234]
v_accvgpr_read_b32 v[vgprValuC+239], acc237 // copy acc to vreg[235]
v_accvgpr_read_b32 v[vgprValuC+242], acc241 // copy acc to vreg[236]
v_accvgpr_read_b32 v[vgprValuC+245], acc245 // copy acc to vreg[237]
v_accvgpr_read_b32 v[vgprValuC+248], acc249 // copy acc to vreg[238]
v_accvgpr_read_b32 v[vgprValuC+251], acc253 // copy acc to vreg[239]
s_nop 1                                            // 2 wait states required before reading vgpr

/* rC *= alpha batchElements=[(5, 0, 0, 0), (5, 0, 0, 1), (5, 0, 0, 2), (5, 0, 0, 3), (5, 0, 1, 0), (5, 0, 1, 1), (5, 0, 1, 2), (5, 0, 1, 3), (5, 0, 2, 0), (5, 0, 2, 1), (5, 0, 2, 2), (5, 0, 2, 3), (5, 0, 3, 0), (5, 0, 3, 1), (5, 0, 3, 2), (5, 0, 3, 3), (5, 0, 4, 0), (5, 0, 4, 1), (5, 0, 4, 2), (5, 0, 4, 3), (5, 0, 5, 0), (5, 0, 5, 1), (5, 0, 5, 2), (5, 0, 5, 3), (5, 0, 6, 0), (5, 0, 6, 1), (5, 0, 6, 2), (5, 0, 6, 3), (5, 0, 7, 0), (5, 0, 7, 1), (5, 0, 7, 2), (5, 0, 7, 3), (6, 0, 0, 0), (6, 0, 0, 1), (6, 0, 0, 2), (6, 0, 0, 3), (6, 0, 1, 0), (6, 0, 1, 1), (6, 0, 1, 2), (6, 0, 1, 3), (6, 0, 2, 0), (6, 0, 2, 1), (6, 0, 2, 2), (6, 0, 2, 3), (6, 0, 3, 0), (6, 0, 3, 1), (6, 0, 3, 2), (6, 0, 3, 3), (6, 0, 4, 0), (6, 0, 4, 1), (6, 0, 4, 2), (6, 0, 4, 3), (6, 0, 5, 0), (6, 0, 5, 1), (6, 0, 5, 2), (6, 0, 5, 3), (6, 0, 6, 0), (6, 0, 6, 1), (6, 0, 6, 2), (6, 0, 6, 3), (6, 0, 7, 0), (6, 0, 7, 1), (6, 0, 7, 2), (6, 0, 7, 3), (7, 0, 0, 0), (7, 0, 0, 1), (7, 0, 0, 2), (7, 0, 0, 3), (7, 0, 1, 0), (7, 0, 1, 1), (7, 0, 1, 2), (7, 0, 1, 3), (7, 0, 2, 0), (7, 0, 2, 1), (7, 0, 2, 2), (7, 0, 2, 3), (7, 0, 3, 0), (7, 0, 3, 1), (7, 0, 3, 2), (7, 0, 3, 3)] */
v_mul_f32 v[vgprValuC+12], s[sgprAlpha], v[vgprValuC+12] // *= alpha
v_mul_f32 v[vgprValuC+15], s[sgprAlpha], v[vgprValuC+15] // *= alpha
	;; [unrolled: 1-line block ×80, first 2 shown]
s_waitcnt vmcnt(0)                                 // wait C

/* apply mask, calc new C and issue writes */
v_mov_b32 v7, 0xffff0000                           // mask for pack two bfloat16 element to 32bit
v_mov_b32 v8, 0x7fff0000                           // fp32 Nan
v_mov_b32 v9, 0x7fff                               // rounding bias for bfloat16
v_lshlrev_b32 v4, 16, v11                          // convert bf16 to fp32
_v_mac_f32 v[vgprValuC+12], v4, s[sgprBeta]        // finalSum = sum*alpha + C*beta
v_cmp_u_f32 s[52:53], v[vgprValuC+12], v[vgprValuC+12] // check Nan
v_bfe_u32 v6, v[vgprValuC+12], 16, 1               // Non-Nan case: store lsb of bf16
v_add3_u32 v6, v[vgprValuC+12], v6, v9             // Non-Nan case: add lsb and the increment for rounding
v_cndmask_b32 v[vgprValuC+12], v6, v8, s[52:53]    // 
v_lshrrev_b32 v[vgprValuC+12], 16, v[vgprValuC+12] // convert C to bf16
_buffer_store_b16 v12, v10, s[sgprSrdD:sgprSrdD+3], 0, offen, offset:0,  sc0 sc1 // store D
v_lshlrev_b32 v4, 16, v14                          // convert bf16 to fp32
_v_mac_f32 v[vgprValuC+15], v4, s[sgprBeta]        // finalSum = sum*alpha + C*beta
v_cmp_u_f32 s[52:53], v[vgprValuC+15], v[vgprValuC+15] // check Nan
v_bfe_u32 v6, v[vgprValuC+15], 16, 1               // Non-Nan case: store lsb of bf16
v_add3_u32 v6, v[vgprValuC+15], v6, v9             // Non-Nan case: add lsb and the increment for rounding
v_cndmask_b32 v[vgprValuC+15], v6, v8, s[52:53]    // 
v_lshrrev_b32 v[vgprValuC+15], 16, v[vgprValuC+15] // convert C to bf16
_buffer_store_b16 v15, v13, s[sgprSrdD:sgprSrdD+3], 0, offen, offset:0,  sc0 sc1 // store D
	;; [unrolled: 8-line block ×30, first 2 shown]
v_lshlrev_b32 v4, 16, v101                         // convert bf16 to fp32
_v_mac_f32 v[vgprValuC+102], v4, s[sgprBeta]       // finalSum = sum*alpha + C*beta
v_cmp_u_f32 s[52:53], v[vgprValuC+102], v[vgprValuC+102] // check Nan
v_bfe_u32 v6, v[vgprValuC+102], 16, 1              // Non-Nan case: store lsb of bf16
v_add3_u32 v6, v[vgprValuC+102], v6, v9            // Non-Nan case: add lsb and the increment for rounding
v_cndmask_b32 v[vgprValuC+102], v6, v8, s[52:53]   // 
v_lshrrev_b32 v[vgprValuC+102], 16, v[vgprValuC+102] // convert C to bf16
_buffer_store_b16 v102, v100, s[sgprSrdD:sgprSrdD+3], 0, offen, offset:0,  sc0 sc1 // store D
v_lshlrev_b32 v4, 16, v104                         // convert bf16 to fp32
_v_mac_f32 v[vgprValuC+105], v4, s[sgprBeta]       // finalSum = sum*alpha + C*beta
v_cmp_u_f32 s[52:53], v[vgprValuC+105], v[vgprValuC+105] // check Nan
v_bfe_u32 v6, v[vgprValuC+105], 16, 1              // Non-Nan case: store lsb of bf16
v_add3_u32 v6, v[vgprValuC+105], v6, v9            // Non-Nan case: add lsb and the increment for rounding
v_cndmask_b32 v[vgprValuC+105], v6, v8, s[52:53]   // 
v_lshrrev_b32 v[vgprValuC+105], 16, v[vgprValuC+105] // convert C to bf16
_buffer_store_b16 v105, v103, s[sgprSrdD:sgprSrdD+3], 0, offen, offset:0,  sc0 sc1 // store D
	;; [unrolled: 8-line block ×50, first 2 shown]
s_nop 0                                            // 1 wait state required when next inst writes vgprs held by previous dwordx4 store inst
/* optSingleColVgpr=0 optSharedColVgpr=0 optSGPRUsage=BufferLoad_Edge_Mask optSrdIncForRow=0 */

/******************************************/
/* Global Write Alpha Beta Edge Batch #3 (d1,d0,vc1,vc0) = */
/*    (7,0,4,0:vw1); (7,0,4,1:vw1); (7,0,4,2:vw1); (7,0,4,3:vw1); (7,0,5,0:vw1); (7,0,5,1:vw1); (7,0,5,2:vw1); (7,0,5,3:vw1); (7,0,6,0:vw1); (7,0,6,1:vw1); (7,0,6,2:vw1); (7,0,6,3:vw1); (7,0,7,0:vw1); (7,0,7,1:vw1); (7,0,7,2:vw1); (7,0,7,3:vw1) */
/******************************************/

/* calc coords, apply mask, and issue loads (if necessary) */
/* (d1,vc1,d0,vc0)=(7,4,0,0) */
_v_add_co_u32 v1, vcc, v1, 1                       // coord1.1: coord1Vgpr += d1*sg1*VW + vc1

/* Fix for UseInitialStridesCD, emitAddressSetupCode */
_v_add_u32 v2, v2, s[sgprStrideC1J]                // ROWINC- Move cinRowPtr to next row
_v_add_u32 v3, v3, s[sgprStrideD1J]                // Move coutRowPtr to next row
v_cmp_lt_u32 s[52:53], v0, s[sgprSizeI]            // coord0 < size0
v_cmp_lt_u32 s[56:57], v1, s[sgprSizeJ]            // coord1 < size1
s_and_b64 s[56:57], s[52:53], s[56:57]             // in0 && in1
_v_add_lshl_u32 v10, v2, v0, 0x1                   // scaleToBpe: accumulate d0 lower and *= bpe into Cin addr
v_cndmask_b32 v10, -1, v10, s[56:57]               // LDC clip if OOB. offset
_buffer_load_d16_b16 v11, v10, s[sgprSrdC:sgprSrdC+3], 0, offen offset:0,  sc0 sc1 // load C for beta calc
_v_add_lshl_u32 v10, v3, v0, 0x1                   // scaleToBpe: accumulate d0 lower and *= bpe into Cin addr
v_cndmask_b32 v10, -1, v10, s[56:57]               // LDD clip if OOB. offset
/* (d1,vc1,d0,vc0)=(7,4,0,1) */
_v_add_co_u32 v4, vcc, v0, 1                       // coord0.1: coord0 += d0*sg0*VW + vc0
v_cmp_lt_u32 s[52:53], v4, s[sgprSizeI]            // coord0 < size0
v_cmp_lt_u32 s[56:57], v1, s[sgprSizeJ]            // coord1 < size1
s_and_b64 s[56:57], s[52:53], s[56:57]             // in0 && in1
_v_add_lshl_u32 v13, v2, v4, 0x1                   // scaleToBpe: accumulate d0 lower and *= bpe into Cin addr
v_cndmask_b32 v13, -1, v13, s[56:57]               // LDC clip if OOB. offset
_buffer_load_d16_b16 v14, v13, s[sgprSrdC:sgprSrdC+3], 0, offen offset:0,  sc0 sc1 // load C for beta calc
_v_add_lshl_u32 v13, v3, v4, 0x1                   // scaleToBpe: accumulate d0 lower and *= bpe into Cin addr
v_cndmask_b32 v13, -1, v13, s[56:57]               // LDD clip if OOB. offset
/* (d1,vc1,d0,vc0)=(7,4,0,2) */
_v_add_co_u32 v4, vcc, v0, 2                       // coord0.1: coord0 += d0*sg0*VW + vc0
v_cmp_lt_u32 s[52:53], v4, s[sgprSizeI]            // coord0 < size0
v_cmp_lt_u32 s[56:57], v1, s[sgprSizeJ]            // coord1 < size1
s_and_b64 s[56:57], s[52:53], s[56:57]             // in0 && in1
_v_add_lshl_u32 v16, v2, v4, 0x1                   // scaleToBpe: accumulate d0 lower and *= bpe into Cin addr
v_cndmask_b32 v16, -1, v16, s[56:57]               // LDC clip if OOB. offset
_buffer_load_d16_b16 v17, v16, s[sgprSrdC:sgprSrdC+3], 0, offen offset:0,  sc0 sc1 // load C for beta calc
_v_add_lshl_u32 v16, v3, v4, 0x1                   // scaleToBpe: accumulate d0 lower and *= bpe into Cin addr
v_cndmask_b32 v16, -1, v16, s[56:57]               // LDD clip if OOB. offset
/* (d1,vc1,d0,vc0)=(7,4,0,3) */
_v_add_co_u32 v4, vcc, v0, 3                       // coord0.1: coord0 += d0*sg0*VW + vc0
v_cmp_lt_u32 s[52:53], v4, s[sgprSizeI]            // coord0 < size0
v_cmp_lt_u32 s[56:57], v1, s[sgprSizeJ]            // coord1 < size1
s_and_b64 s[56:57], s[52:53], s[56:57]             // in0 && in1
_v_add_lshl_u32 v19, v2, v4, 0x1                   // scaleToBpe: accumulate d0 lower and *= bpe into Cin addr
v_cndmask_b32 v19, -1, v19, s[56:57]               // LDC clip if OOB. offset
_buffer_load_d16_b16 v20, v19, s[sgprSrdC:sgprSrdC+3], 0, offen offset:0,  sc0 sc1 // load C for beta calc
_v_add_lshl_u32 v19, v3, v4, 0x1                   // scaleToBpe: accumulate d0 lower and *= bpe into Cin addr
v_cndmask_b32 v19, -1, v19, s[56:57]               // LDD clip if OOB. offset
/* (d1,vc1,d0,vc0)=(7,5,0,0) */
_v_add_co_u32 v1, vcc, v1, 1                       // coord1.1: coord1Vgpr += d1*sg1*VW + vc1

/* Fix for UseInitialStridesCD, emitAddressSetupCode */
_v_add_u32 v2, v2, s[sgprStrideC1J]                // ROWINC- Move cinRowPtr to next row
_v_add_u32 v3, v3, s[sgprStrideD1J]                // Move coutRowPtr to next row
v_cmp_lt_u32 s[52:53], v0, s[sgprSizeI]            // coord0 < size0
v_cmp_lt_u32 s[56:57], v1, s[sgprSizeJ]            // coord1 < size1
s_and_b64 s[56:57], s[52:53], s[56:57]             // in0 && in1
_v_add_lshl_u32 v22, v2, v0, 0x1                   // scaleToBpe: accumulate d0 lower and *= bpe into Cin addr
v_cndmask_b32 v22, -1, v22, s[56:57]               // LDC clip if OOB. offset
_buffer_load_d16_b16 v23, v22, s[sgprSrdC:sgprSrdC+3], 0, offen offset:0,  sc0 sc1 // load C for beta calc
_v_add_lshl_u32 v22, v3, v0, 0x1                   // scaleToBpe: accumulate d0 lower and *= bpe into Cin addr
v_cndmask_b32 v22, -1, v22, s[56:57]               // LDD clip if OOB. offset
/* (d1,vc1,d0,vc0)=(7,5,0,1) */
_v_add_co_u32 v4, vcc, v0, 1                       // coord0.1: coord0 += d0*sg0*VW + vc0
v_cmp_lt_u32 s[52:53], v4, s[sgprSizeI]            // coord0 < size0
v_cmp_lt_u32 s[56:57], v1, s[sgprSizeJ]            // coord1 < size1
s_and_b64 s[56:57], s[52:53], s[56:57]             // in0 && in1
_v_add_lshl_u32 v25, v2, v4, 0x1                   // scaleToBpe: accumulate d0 lower and *= bpe into Cin addr
v_cndmask_b32 v25, -1, v25, s[56:57]               // LDC clip if OOB. offset
_buffer_load_d16_b16 v26, v25, s[sgprSrdC:sgprSrdC+3], 0, offen offset:0,  sc0 sc1 // load C for beta calc
_v_add_lshl_u32 v25, v3, v4, 0x1                   // scaleToBpe: accumulate d0 lower and *= bpe into Cin addr
v_cndmask_b32 v25, -1, v25, s[56:57]               // LDD clip if OOB. offset
/* (d1,vc1,d0,vc0)=(7,5,0,2) */
_v_add_co_u32 v4, vcc, v0, 2                       // coord0.1: coord0 += d0*sg0*VW + vc0
v_cmp_lt_u32 s[52:53], v4, s[sgprSizeI]            // coord0 < size0
v_cmp_lt_u32 s[56:57], v1, s[sgprSizeJ]            // coord1 < size1
s_and_b64 s[56:57], s[52:53], s[56:57]             // in0 && in1
_v_add_lshl_u32 v28, v2, v4, 0x1                   // scaleToBpe: accumulate d0 lower and *= bpe into Cin addr
v_cndmask_b32 v28, -1, v28, s[56:57]               // LDC clip if OOB. offset
_buffer_load_d16_b16 v29, v28, s[sgprSrdC:sgprSrdC+3], 0, offen offset:0,  sc0 sc1 // load C for beta calc
_v_add_lshl_u32 v28, v3, v4, 0x1                   // scaleToBpe: accumulate d0 lower and *= bpe into Cin addr
v_cndmask_b32 v28, -1, v28, s[56:57]               // LDD clip if OOB. offset
/* (d1,vc1,d0,vc0)=(7,5,0,3) */
_v_add_co_u32 v4, vcc, v0, 3                       // coord0.1: coord0 += d0*sg0*VW + vc0
v_cmp_lt_u32 s[52:53], v4, s[sgprSizeI]            // coord0 < size0
v_cmp_lt_u32 s[56:57], v1, s[sgprSizeJ]            // coord1 < size1
s_and_b64 s[56:57], s[52:53], s[56:57]             // in0 && in1
_v_add_lshl_u32 v31, v2, v4, 0x1                   // scaleToBpe: accumulate d0 lower and *= bpe into Cin addr
v_cndmask_b32 v31, -1, v31, s[56:57]               // LDC clip if OOB. offset
_buffer_load_d16_b16 v32, v31, s[sgprSrdC:sgprSrdC+3], 0, offen offset:0,  sc0 sc1 // load C for beta calc
_v_add_lshl_u32 v31, v3, v4, 0x1                   // scaleToBpe: accumulate d0 lower and *= bpe into Cin addr
v_cndmask_b32 v31, -1, v31, s[56:57]               // LDD clip if OOB. offset
	;; [unrolled: 44-line block ×4, first 2 shown]
v_accvgpr_read_b32 v[vgprValuC+12], acc226 // copy acc to vreg[240]
v_accvgpr_read_b32 v[vgprValuC+15], acc230 // copy acc to vreg[241]
v_accvgpr_read_b32 v[vgprValuC+18], acc234 // copy acc to vreg[242]
v_accvgpr_read_b32 v[vgprValuC+21], acc238 // copy acc to vreg[243]
v_accvgpr_read_b32 v[vgprValuC+24], acc242 // copy acc to vreg[244]
v_accvgpr_read_b32 v[vgprValuC+27], acc246 // copy acc to vreg[245]
v_accvgpr_read_b32 v[vgprValuC+30], acc250 // copy acc to vreg[246]
v_accvgpr_read_b32 v[vgprValuC+33], acc254 // copy acc to vreg[247]
v_accvgpr_read_b32 v[vgprValuC+36], acc227 // copy acc to vreg[248]
v_accvgpr_read_b32 v[vgprValuC+39], acc231 // copy acc to vreg[249]
v_accvgpr_read_b32 v[vgprValuC+42], acc235 // copy acc to vreg[250]
v_accvgpr_read_b32 v[vgprValuC+45], acc239 // copy acc to vreg[251]
v_accvgpr_read_b32 v[vgprValuC+48], acc243 // copy acc to vreg[252]
v_accvgpr_read_b32 v[vgprValuC+51], acc247 // copy acc to vreg[253]
v_accvgpr_read_b32 v[vgprValuC+54], acc251 // copy acc to vreg[254]
v_accvgpr_read_b32 v[vgprValuC+57], acc255 // copy acc to vreg[255]
s_nop 1                                            // 2 wait states required before reading vgpr

/* rC *= alpha batchElements=[(7, 0, 4, 0), (7, 0, 4, 1), (7, 0, 4, 2), (7, 0, 4, 3), (7, 0, 5, 0), (7, 0, 5, 1), (7, 0, 5, 2), (7, 0, 5, 3), (7, 0, 6, 0), (7, 0, 6, 1), (7, 0, 6, 2), (7, 0, 6, 3), (7, 0, 7, 0), (7, 0, 7, 1), (7, 0, 7, 2), (7, 0, 7, 3)] */
v_mul_f32 v[vgprValuC+12], s[sgprAlpha], v[vgprValuC+12] // *= alpha
v_mul_f32 v[vgprValuC+15], s[sgprAlpha], v[vgprValuC+15] // *= alpha
	;; [unrolled: 1-line block ×16, first 2 shown]
s_waitcnt vmcnt(0)                                 // wait C

/* apply mask, calc new C and issue writes */
v_mov_b32 v7, 0xffff0000                           // mask for pack two bfloat16 element to 32bit
v_mov_b32 v8, 0x7fff0000                           // fp32 Nan
v_mov_b32 v9, 0x7fff                               // rounding bias for bfloat16
v_lshlrev_b32 v4, 16, v11                          // convert bf16 to fp32
_v_mac_f32 v[vgprValuC+12], v4, s[sgprBeta]        // finalSum = sum*alpha + C*beta
v_cmp_u_f32 s[52:53], v[vgprValuC+12], v[vgprValuC+12] // check Nan
v_bfe_u32 v6, v[vgprValuC+12], 16, 1               // Non-Nan case: store lsb of bf16
v_add3_u32 v6, v[vgprValuC+12], v6, v9             // Non-Nan case: add lsb and the increment for rounding
v_cndmask_b32 v[vgprValuC+12], v6, v8, s[52:53]    // 
v_lshrrev_b32 v[vgprValuC+12], 16, v[vgprValuC+12] // convert C to bf16
_buffer_store_b16 v12, v10, s[sgprSrdD:sgprSrdD+3], 0, offen, offset:0,  sc0 sc1 // store D
v_lshlrev_b32 v4, 16, v14                          // convert bf16 to fp32
_v_mac_f32 v[vgprValuC+15], v4, s[sgprBeta]        // finalSum = sum*alpha + C*beta
v_cmp_u_f32 s[52:53], v[vgprValuC+15], v[vgprValuC+15] // check Nan
v_bfe_u32 v6, v[vgprValuC+15], 16, 1               // Non-Nan case: store lsb of bf16
v_add3_u32 v6, v[vgprValuC+15], v6, v9             // Non-Nan case: add lsb and the increment for rounding
v_cndmask_b32 v[vgprValuC+15], v6, v8, s[52:53]    // 
v_lshrrev_b32 v[vgprValuC+15], 16, v[vgprValuC+15] // convert C to bf16
_buffer_store_b16 v15, v13, s[sgprSrdD:sgprSrdD+3], 0, offen, offset:0,  sc0 sc1 // store D
	;; [unrolled: 8-line block ×16, first 2 shown]
s_nop 0                                            // 1 wait state required when next inst writes vgprs held by previous dwordx4 store inst
s_branch label_GW_End_58                           // jump to end
label_GW_End_58:

label_0063:  /// KernelEnd
s_endpgm                                           // Kernel End

